;; amdgpu-corpus repo=ROCm/rocFFT kind=compiled arch=gfx906 opt=O3
	.text
	.amdgcn_target "amdgcn-amd-amdhsa--gfx906"
	.amdhsa_code_object_version 6
	.protected	bluestein_single_fwd_len510_dim1_half_op_CI_CI ; -- Begin function bluestein_single_fwd_len510_dim1_half_op_CI_CI
	.globl	bluestein_single_fwd_len510_dim1_half_op_CI_CI
	.p2align	8
	.type	bluestein_single_fwd_len510_dim1_half_op_CI_CI,@function
bluestein_single_fwd_len510_dim1_half_op_CI_CI: ; @bluestein_single_fwd_len510_dim1_half_op_CI_CI
; %bb.0:
	s_mov_b64 s[46:47], s[2:3]
	v_mul_u32_u24_e32 v1, 0x788, v0
	s_mov_b64 s[44:45], s[0:1]
	s_load_dwordx4 s[0:3], s[4:5], 0x28
	v_lshrrev_b32_e32 v1, 16, v1
	s_add_u32 s44, s44, s7
	v_mad_u64_u32 v[12:13], s[6:7], s6, 7, v[1:2]
	v_mov_b32_e32 v13, 0
	s_addc_u32 s45, s45, 0
	s_waitcnt lgkmcnt(0)
	v_cmp_gt_u64_e32 vcc, s[0:1], v[12:13]
	s_and_saveexec_b64 s[0:1], vcc
	s_cbranch_execz .LBB0_23
; %bb.1:
	s_mov_b32 s0, 0x24924925
	v_mul_hi_u32 v2, v12, s0
	s_load_dwordx2 s[6:7], s[4:5], 0x0
	s_load_dwordx2 s[12:13], s[4:5], 0x38
	v_mul_lo_u16_e32 v1, 34, v1
	v_sub_u16_e32 v39, v0, v1
	v_sub_u32_e32 v3, v12, v2
	v_lshrrev_b32_e32 v3, 1, v3
	v_add_u32_e32 v2, v3, v2
	v_lshrrev_b32_e32 v2, 2, v2
	v_mul_lo_u32 v2, v2, 7
	v_cmp_gt_u16_e64 s[0:1], 30, v39
	v_lshlrev_b32_e32 v40, 2, v39
	v_sub_u32_e32 v0, v12, v2
	v_mul_u32_u24_e32 v23, 0x1fe, v0
	v_lshlrev_b32_e32 v174, 2, v23
	s_and_saveexec_b64 s[14:15], s[0:1]
	s_cbranch_execz .LBB0_3
; %bb.2:
	s_load_dwordx2 s[8:9], s[4:5], 0x18
	v_lshl_add_u32 v14, v39, 2, v174
	v_add_u32_e32 v15, v174, v40
	s_waitcnt lgkmcnt(0)
	s_load_dwordx4 s[8:11], s[8:9], 0x0
	s_waitcnt lgkmcnt(0)
	v_mad_u64_u32 v[0:1], s[16:17], s10, v12, 0
	v_mad_u64_u32 v[2:3], s[16:17], s8, v39, 0
	;; [unrolled: 1-line block ×4, first 2 shown]
	v_mov_b32_e32 v1, v4
	v_lshlrev_b64 v[0:1], 2, v[0:1]
	v_mov_b32_e32 v3, v5
	v_mov_b32_e32 v6, s3
	v_lshlrev_b64 v[2:3], 2, v[2:3]
	v_add_co_u32_e32 v5, vcc, s2, v0
	v_addc_co_u32_e32 v6, vcc, v6, v1, vcc
	v_add_co_u32_e32 v0, vcc, v5, v2
	s_mul_i32 s2, s9, 0x78
	s_mul_hi_u32 s3, s8, 0x78
	v_addc_co_u32_e32 v1, vcc, v6, v3, vcc
	s_add_i32 s3, s3, s2
	s_mul_i32 s2, s8, 0x78
	v_mov_b32_e32 v3, s3
	v_add_co_u32_e32 v2, vcc, s2, v0
	v_addc_co_u32_e32 v3, vcc, v1, v3, vcc
	global_load_dword v4, v[0:1], off
	global_load_dword v7, v[2:3], off
	global_load_dword v8, v40, s[6:7]
	global_load_dword v9, v40, s[6:7] offset:120
	v_mov_b32_e32 v1, s3
	v_add_co_u32_e32 v0, vcc, s2, v2
	v_addc_co_u32_e32 v1, vcc, v3, v1, vcc
	global_load_dword v2, v[0:1], off
	global_load_dword v3, v40, s[6:7] offset:240
	v_mov_b32_e32 v10, s3
	v_add_co_u32_e32 v0, vcc, s2, v0
	v_addc_co_u32_e32 v1, vcc, v1, v10, vcc
	global_load_dword v10, v[0:1], off
	;; [unrolled: 5-line block ×3, first 2 shown]
	v_mov_b32_e32 v20, s3
	v_add_co_u32_e32 v0, vcc, s2, v0
	v_addc_co_u32_e32 v1, vcc, v1, v20, vcc
	global_load_dword v16, v40, s[6:7] offset:480
	global_load_dword v17, v40, s[6:7] offset:600
	;; [unrolled: 1-line block ×4, first 2 shown]
	global_load_dword v20, v[0:1], off
	v_mov_b32_e32 v21, s3
	v_add_co_u32_e32 v0, vcc, s2, v0
	v_addc_co_u32_e32 v1, vcc, v1, v21, vcc
	global_load_dword v21, v[0:1], off
	v_mov_b32_e32 v22, s3
	v_add_co_u32_e32 v0, vcc, s2, v0
	v_addc_co_u32_e32 v1, vcc, v1, v22, vcc
	global_load_dword v22, v[0:1], off
	v_mov_b32_e32 v24, s3
	v_add_co_u32_e32 v0, vcc, s2, v0
	v_addc_co_u32_e32 v1, vcc, v1, v24, vcc
	v_mov_b32_e32 v34, s3
	s_waitcnt vmcnt(15)
	v_lshrrev_b32_e32 v25, 16, v4
	s_waitcnt vmcnt(13)
	v_mul_f16_sdwa v26, v8, v4 dst_sel:DWORD dst_unused:UNUSED_PAD src0_sel:WORD_1 src1_sel:DWORD
	v_mul_f16_sdwa v27, v8, v25 dst_sel:DWORD dst_unused:UNUSED_PAD src0_sel:WORD_1 src1_sel:DWORD
	v_fma_f16 v25, v8, v25, -v26
	v_lshrrev_b32_e32 v26, 16, v7
	s_waitcnt vmcnt(12)
	v_mul_f16_sdwa v28, v9, v7 dst_sel:DWORD dst_unused:UNUSED_PAD src0_sel:WORD_1 src1_sel:DWORD
	v_fma_f16 v4, v8, v4, v27
	v_mul_f16_sdwa v8, v9, v26 dst_sel:DWORD dst_unused:UNUSED_PAD src0_sel:WORD_1 src1_sel:DWORD
	s_waitcnt vmcnt(11)
	v_lshrrev_b32_e32 v27, 16, v2
	v_fma_f16 v26, v9, v26, -v28
	s_waitcnt vmcnt(10)
	v_mul_f16_sdwa v28, v3, v2 dst_sel:DWORD dst_unused:UNUSED_PAD src0_sel:WORD_1 src1_sel:DWORD
	v_fma_f16 v7, v9, v7, v8
	v_mul_f16_sdwa v8, v3, v27 dst_sel:DWORD dst_unused:UNUSED_PAD src0_sel:WORD_1 src1_sel:DWORD
	v_pack_b32_f16 v4, v4, v25
	v_fma_f16 v9, v3, v27, -v28
	v_fma_f16 v2, v3, v2, v8
	s_waitcnt vmcnt(9)
	v_lshrrev_b32_e32 v25, 16, v10
	ds_write_b32 v14, v4
	v_pack_b32_f16 v4, v7, v26
	v_pack_b32_f16 v2, v2, v9
	s_waitcnt vmcnt(8)
	v_mul_f16_sdwa v3, v11, v25 dst_sel:DWORD dst_unused:UNUSED_PAD src0_sel:WORD_1 src1_sel:DWORD
	ds_write2_b32 v15, v4, v2 offset0:30 offset1:60
	v_mul_f16_sdwa v27, v11, v10 dst_sel:DWORD dst_unused:UNUSED_PAD src0_sel:WORD_1 src1_sel:DWORD
	v_fma_f16 v3, v11, v10, v3
	global_load_dword v9, v[0:1], off
	global_load_dword v10, v40, s[6:7] offset:960
	v_mov_b32_e32 v2, s3
	v_add_co_u32_e32 v0, vcc, s2, v0
	v_addc_co_u32_e32 v1, vcc, v1, v2, vcc
	v_fma_f16 v7, v11, v25, -v27
	global_load_dword v11, v[0:1], off
	v_add_co_u32_e32 v0, vcc, s2, v0
	v_addc_co_u32_e32 v1, vcc, v1, v2, vcc
	global_load_dword v14, v[0:1], off
	global_load_dword v24, v40, s[6:7] offset:1080
	global_load_dword v25, v40, s[6:7] offset:1200
	v_add_co_u32_e32 v0, vcc, s2, v0
	v_addc_co_u32_e32 v1, vcc, v1, v2, vcc
	global_load_dword v26, v[0:1], off
	v_add_co_u32_e32 v0, vcc, s2, v0
	v_addc_co_u32_e32 v1, vcc, v1, v2, vcc
	global_load_dword v27, v[0:1], off
	global_load_dword v28, v40, s[6:7] offset:1320
	global_load_dword v29, v40, s[6:7] offset:1440
	v_add_co_u32_e32 v0, vcc, s2, v0
	v_addc_co_u32_e32 v1, vcc, v1, v2, vcc
	global_load_dword v30, v[0:1], off
	v_add_co_u32_e32 v0, vcc, s2, v0
	v_or_b32_e32 v4, 0x1e0, v39
	v_pack_b32_f16 v7, v3, v7
	v_addc_co_u32_e32 v1, vcc, v1, v2, vcc
	v_mad_u64_u32 v[2:3], s[10:11], s8, v4, 0
	global_load_dword v31, v[0:1], off
	global_load_dword v32, v40, s[6:7] offset:1560
	global_load_dword v33, v40, s[6:7] offset:1680
	v_mad_u64_u32 v[3:4], s[8:9], s9, v4, v[3:4]
	v_add_co_u32_e32 v0, vcc, s2, v0
	v_addc_co_u32_e32 v1, vcc, v1, v34, vcc
	global_load_dword v4, v[0:1], off
	global_load_dword v34, v40, s[6:7] offset:1800
	v_lshlrev_b64 v[0:1], 2, v[2:3]
	s_waitcnt vmcnt(23)
	v_lshrrev_b32_e32 v8, 16, v13
	v_add_co_u32_e32 v0, vcc, v5, v0
	v_addc_co_u32_e32 v1, vcc, v6, v1, vcc
	global_load_dword v2, v[0:1], off
	global_load_dword v3, v40, s[6:7] offset:1920
	s_waitcnt vmcnt(24)
	v_mul_f16_sdwa v0, v16, v8 dst_sel:DWORD dst_unused:UNUSED_PAD src0_sel:WORD_1 src1_sel:DWORD
	v_mul_f16_sdwa v1, v16, v13 dst_sel:DWORD dst_unused:UNUSED_PAD src0_sel:WORD_1 src1_sel:DWORD
	v_fma_f16 v0, v16, v13, v0
	v_fma_f16 v1, v16, v8, -v1
	v_pack_b32_f16 v0, v0, v1
	ds_write2_b32 v15, v7, v0 offset0:90 offset1:120
	s_waitcnt vmcnt(20)
	v_lshrrev_b32_e32 v0, 16, v20
	v_mul_f16_sdwa v1, v17, v0 dst_sel:DWORD dst_unused:UNUSED_PAD src0_sel:WORD_1 src1_sel:DWORD
	v_mul_f16_sdwa v5, v17, v20 dst_sel:DWORD dst_unused:UNUSED_PAD src0_sel:WORD_1 src1_sel:DWORD
	v_fma_f16 v1, v17, v20, v1
	v_fma_f16 v0, v17, v0, -v5
	v_pack_b32_f16 v0, v1, v0
	s_waitcnt vmcnt(19)
	v_lshrrev_b32_e32 v1, 16, v21
	v_mul_f16_sdwa v5, v18, v1 dst_sel:DWORD dst_unused:UNUSED_PAD src0_sel:WORD_1 src1_sel:DWORD
	v_mul_f16_sdwa v6, v18, v21 dst_sel:DWORD dst_unused:UNUSED_PAD src0_sel:WORD_1 src1_sel:DWORD
	v_fma_f16 v5, v18, v21, v5
	v_fma_f16 v1, v18, v1, -v6
	v_pack_b32_f16 v1, v5, v1
	ds_write2_b32 v15, v0, v1 offset0:150 offset1:180
	s_waitcnt vmcnt(18)
	v_lshrrev_b32_e32 v0, 16, v22
	v_mul_f16_sdwa v1, v19, v0 dst_sel:DWORD dst_unused:UNUSED_PAD src0_sel:WORD_1 src1_sel:DWORD
	v_mul_f16_sdwa v5, v19, v22 dst_sel:DWORD dst_unused:UNUSED_PAD src0_sel:WORD_1 src1_sel:DWORD
	v_fma_f16 v1, v19, v22, v1
	v_fma_f16 v0, v19, v0, -v5
	v_pack_b32_f16 v0, v1, v0
	s_waitcnt vmcnt(17)
	v_lshrrev_b32_e32 v1, 16, v9
	s_waitcnt vmcnt(16)
	v_mul_f16_sdwa v5, v10, v1 dst_sel:DWORD dst_unused:UNUSED_PAD src0_sel:WORD_1 src1_sel:DWORD
	v_mul_f16_sdwa v6, v10, v9 dst_sel:DWORD dst_unused:UNUSED_PAD src0_sel:WORD_1 src1_sel:DWORD
	v_fma_f16 v5, v10, v9, v5
	v_fma_f16 v1, v10, v1, -v6
	v_pack_b32_f16 v1, v5, v1
	ds_write2_b32 v15, v0, v1 offset0:210 offset1:240
	s_waitcnt vmcnt(15)
	v_lshrrev_b32_e32 v0, 16, v11
	s_waitcnt vmcnt(13)
	v_mul_f16_sdwa v1, v24, v0 dst_sel:DWORD dst_unused:UNUSED_PAD src0_sel:WORD_1 src1_sel:DWORD
	v_mul_f16_sdwa v5, v24, v11 dst_sel:DWORD dst_unused:UNUSED_PAD src0_sel:WORD_1 src1_sel:DWORD
	v_fma_f16 v1, v24, v11, v1
	v_fma_f16 v0, v24, v0, -v5
	v_pack_b32_f16 v0, v1, v0
	v_lshrrev_b32_e32 v1, 16, v14
	s_waitcnt vmcnt(12)
	v_mul_f16_sdwa v5, v25, v1 dst_sel:DWORD dst_unused:UNUSED_PAD src0_sel:WORD_1 src1_sel:DWORD
	v_mul_f16_sdwa v6, v25, v14 dst_sel:DWORD dst_unused:UNUSED_PAD src0_sel:WORD_1 src1_sel:DWORD
	v_fma_f16 v5, v25, v14, v5
	v_fma_f16 v1, v25, v1, -v6
	v_pack_b32_f16 v1, v5, v1
	v_add_u32_e32 v5, 0x400, v15
	ds_write2_b32 v5, v0, v1 offset0:14 offset1:44
	s_waitcnt vmcnt(11)
	v_lshrrev_b32_e32 v0, 16, v26
	s_waitcnt vmcnt(9)
	v_mul_f16_sdwa v1, v28, v0 dst_sel:DWORD dst_unused:UNUSED_PAD src0_sel:WORD_1 src1_sel:DWORD
	v_mul_f16_sdwa v6, v28, v26 dst_sel:DWORD dst_unused:UNUSED_PAD src0_sel:WORD_1 src1_sel:DWORD
	v_fma_f16 v1, v28, v26, v1
	v_fma_f16 v0, v28, v0, -v6
	v_pack_b32_f16 v0, v1, v0
	v_lshrrev_b32_e32 v1, 16, v27
	s_waitcnt vmcnt(8)
	v_mul_f16_sdwa v6, v29, v1 dst_sel:DWORD dst_unused:UNUSED_PAD src0_sel:WORD_1 src1_sel:DWORD
	v_mul_f16_sdwa v7, v29, v27 dst_sel:DWORD dst_unused:UNUSED_PAD src0_sel:WORD_1 src1_sel:DWORD
	v_fma_f16 v6, v29, v27, v6
	v_fma_f16 v1, v29, v1, -v7
	v_pack_b32_f16 v1, v6, v1
	ds_write2_b32 v5, v0, v1 offset0:74 offset1:104
	s_waitcnt vmcnt(7)
	v_lshrrev_b32_e32 v0, 16, v30
	s_waitcnt vmcnt(5)
	v_mul_f16_sdwa v1, v32, v0 dst_sel:DWORD dst_unused:UNUSED_PAD src0_sel:WORD_1 src1_sel:DWORD
	v_mul_f16_sdwa v6, v32, v30 dst_sel:DWORD dst_unused:UNUSED_PAD src0_sel:WORD_1 src1_sel:DWORD
	v_fma_f16 v1, v32, v30, v1
	v_fma_f16 v0, v32, v0, -v6
	v_pack_b32_f16 v0, v1, v0
	v_lshrrev_b32_e32 v1, 16, v31
	s_waitcnt vmcnt(4)
	v_mul_f16_sdwa v6, v33, v1 dst_sel:DWORD dst_unused:UNUSED_PAD src0_sel:WORD_1 src1_sel:DWORD
	v_mul_f16_sdwa v7, v33, v31 dst_sel:DWORD dst_unused:UNUSED_PAD src0_sel:WORD_1 src1_sel:DWORD
	v_fma_f16 v6, v33, v31, v6
	v_fma_f16 v1, v33, v1, -v7
	v_pack_b32_f16 v1, v6, v1
	ds_write2_b32 v5, v0, v1 offset0:134 offset1:164
	s_waitcnt vmcnt(3)
	v_lshrrev_b32_e32 v0, 16, v4
	s_waitcnt vmcnt(2)
	v_mul_f16_sdwa v1, v34, v0 dst_sel:DWORD dst_unused:UNUSED_PAD src0_sel:WORD_1 src1_sel:DWORD
	v_fma_f16 v1, v34, v4, v1
	v_mul_f16_sdwa v4, v34, v4 dst_sel:DWORD dst_unused:UNUSED_PAD src0_sel:WORD_1 src1_sel:DWORD
	v_fma_f16 v0, v34, v0, -v4
	v_pack_b32_f16 v0, v1, v0
	s_waitcnt vmcnt(1)
	v_lshrrev_b32_e32 v1, 16, v2
	s_waitcnt vmcnt(0)
	v_mul_f16_sdwa v4, v3, v1 dst_sel:DWORD dst_unused:UNUSED_PAD src0_sel:WORD_1 src1_sel:DWORD
	v_fma_f16 v4, v3, v2, v4
	v_mul_f16_sdwa v2, v3, v2 dst_sel:DWORD dst_unused:UNUSED_PAD src0_sel:WORD_1 src1_sel:DWORD
	v_fma_f16 v1, v3, v1, -v2
	v_pack_b32_f16 v1, v4, v1
	ds_write2_b32 v5, v0, v1 offset0:194 offset1:224
.LBB0_3:
	s_or_b64 exec, exec, s[14:15]
	v_mov_b32_e32 v2, 0
	s_waitcnt lgkmcnt(0)
	s_barrier
	s_waitcnt lgkmcnt(0)
                                        ; implicit-def: $vgpr13
                                        ; implicit-def: $vgpr5
                                        ; implicit-def: $vgpr7
                                        ; implicit-def: $vgpr16
                                        ; implicit-def: $vgpr11
                                        ; implicit-def: $vgpr9
                                        ; implicit-def: $vgpr18
                                        ; implicit-def: $vgpr20
                                        ; implicit-def: $vgpr38
	s_and_saveexec_b64 s[2:3], s[0:1]
	s_cbranch_execz .LBB0_5
; %bb.4:
	v_lshl_add_u32 v0, v23, 2, v40
	v_add_u32_e32 v1, 0x200, v0
	ds_read2_b32 v[2:3], v0 offset1:30
	ds_read2_b32 v[19:20], v0 offset0:60 offset1:90
	ds_read2_b32 v[17:18], v0 offset0:120 offset1:150
	;; [unrolled: 1-line block ×4, first 2 shown]
	v_add_u32_e32 v1, 0x400, v0
	ds_read2_b32 v[15:16], v1 offset0:44 offset1:74
	ds_read2_b32 v[6:7], v1 offset0:104 offset1:134
	;; [unrolled: 1-line block ×3, first 2 shown]
	ds_read_b32 v13, v0 offset:1920
	s_waitcnt lgkmcnt(7)
	v_alignbit_b32 v38, v19, v19, 16
.LBB0_5:
	s_or_b64 exec, exec, s[2:3]
	s_waitcnt lgkmcnt(0)
	v_pk_add_f16 v21, v13, v3
	v_pk_add_f16 v19, v3, v13 neg_lo:[0,1] neg_hi:[0,1]
	v_lshrrev_b32_e32 v57, 16, v21
	s_movk_i32 s16, 0x3722
	v_mul_f16_e32 v60, 0xbb29, v19
	s_mov_b32 s27, 0xb5c8
	v_fma_f16 v22, v57, s16, -v60
	s_movk_i32 s10, 0x3b76
	v_mul_f16_sdwa v30, v19, s27 dst_sel:DWORD dst_unused:UNUSED_PAD src0_sel:WORD_1 src1_sel:DWORD
	s_mov_b32 s31, 0xb964
	v_add_f16_sdwa v24, v22, v2 dst_sel:DWORD dst_unused:UNUSED_PAD src0_sel:DWORD src1_sel:WORD_1
	v_pk_add_f16 v22, v5, v38 op_sel:[1,0] op_sel_hi:[0,1]
	v_pk_add_f16 v27, v38, v5 op_sel:[1,0] op_sel_hi:[0,1] neg_lo:[0,1] neg_hi:[0,1]
	v_fma_f16 v0, v21, s10, v30
	s_movk_i32 s11, 0x39e9
	v_mul_f16_e32 v36, 0xb964, v19
	s_mov_b32 s26, 0xbb29
	v_lshrrev_b32_e32 v54, 16, v22
	v_mul_f16_sdwa v33, v27, s31 dst_sel:DWORD dst_unused:UNUSED_PAD src0_sel:WORD_1 src1_sel:DWORD
	v_add_f16_e32 v0, v0, v2
	v_fma_f16 v1, v57, s11, -v36
	v_mul_f16_sdwa v49, v19, s26 dst_sel:DWORD dst_unused:UNUSED_PAD src0_sel:WORD_1 src1_sel:DWORD
	v_fma_f16 v25, v54, s11, v33
	s_movk_i32 s18, 0x2de8
	v_mul_f16_e32 v46, 0xbbf7, v27
	s_mov_b32 s17, 0xba62
	v_add_f16_sdwa v1, v1, v2 dst_sel:DWORD dst_unused:UNUSED_PAD src0_sel:DWORD src1_sel:WORD_1
	v_fma_f16 v14, v21, s16, v49
	v_add_f16_e32 v0, v25, v0
	v_fma_f16 v25, v22, s18, -v46
	s_mov_b32 s19, 0xb8d2
	v_mul_f16_sdwa v52, v27, s17 dst_sel:DWORD dst_unused:UNUSED_PAD src0_sel:WORD_1 src1_sel:DWORD
	v_add_f16_e32 v14, v14, v2
	v_add_f16_e32 v1, v25, v1
	v_mul_f16_e32 v68, 0xba62, v27
	v_fma_f16 v25, v54, s19, v52
	v_pk_add_f16 v26, v20, v4 neg_lo:[0,1] neg_hi:[0,1]
	v_add_f16_e32 v14, v25, v14
	v_fma_f16 v25, v22, s19, -v68
	v_pk_add_f16 v29, v4, v20
	v_mul_f16_sdwa v37, v26, s26 dst_sel:DWORD dst_unused:UNUSED_PAD src0_sel:WORD_1 src1_sel:DWORD
	v_add_f16_e32 v24, v25, v24
	v_fma_f16 v25, v29, s16, v37
	v_lshrrev_b32_e32 v62, 16, v29
	v_mul_f16_e32 v50, 0xba62, v26
	s_movk_i32 s34, 0x31e1
	v_add_f16_e32 v0, v25, v0
	v_fma_f16 v25, v62, s19, -v50
	s_mov_b32 s21, 0xbbdd
	v_mul_f16_sdwa v55, v26, s34 dst_sel:DWORD dst_unused:UNUSED_PAD src0_sel:WORD_1 src1_sel:DWORD
	s_mov_b32 s28, 0xbbf7
	v_add_f16_e32 v1, v25, v1
	v_mul_f16_e32 v70, 0x31e1, v26
	v_fma_f16 v25, v29, s21, v55
	v_pk_add_f16 v28, v17, v7 neg_lo:[0,1] neg_hi:[0,1]
	v_add_f16_e32 v14, v25, v14
	v_fma_f16 v25, v62, s21, -v70
	v_pk_add_f16 v31, v7, v17
	v_mul_f16_sdwa v47, v28, s28 dst_sel:DWORD dst_unused:UNUSED_PAD src0_sel:WORD_1 src1_sel:DWORD
	v_add_f16_e32 v24, v25, v24
	v_fma_f16 v25, v31, s18, v47
	v_lshrrev_b32_e32 v64, 16, v31
	v_mul_f16_e32 v53, 0xb1e1, v28
	s_movk_i32 s33, 0x3bb2
	v_add_f16_e32 v0, v25, v0
	v_fma_f16 v25, v64, s21, -v53
	s_mov_b32 s22, 0xb461
	v_mul_f16_sdwa v59, v28, s33 dst_sel:DWORD dst_unused:UNUSED_PAD src0_sel:WORD_1 src1_sel:DWORD
	v_add_f16_e32 v1, v25, v1
	v_mul_f16_e32 v74, 0x3bb2, v28
	v_fma_f16 v25, v31, s22, v59
	v_pk_add_f16 v32, v18, v6 neg_lo:[0,1] neg_hi:[0,1]
	s_mov_b32 s20, 0xbbb2
	v_add_f16_e32 v14, v25, v14
	v_fma_f16 v25, v64, s22, -v74
	v_pk_add_f16 v34, v6, v18
	v_mul_f16_sdwa v51, v32, s20 dst_sel:DWORD dst_unused:UNUSED_PAD src0_sel:WORD_1 src1_sel:DWORD
	v_add_f16_e32 v24, v25, v24
	v_fma_f16 v25, v34, s22, v51
	v_lshrrev_b32_e32 v69, 16, v34
	s_mov_b32 s24, 0xbacd
	v_mul_f16_e32 v58, 0x3836, v32
	s_movk_i32 s23, 0x3964
	v_add_f16_e32 v0, v25, v0
	v_fma_f16 v25, v69, s24, -v58
	v_mul_f16_sdwa v66, v32, s23 dst_sel:DWORD dst_unused:UNUSED_PAD src0_sel:WORD_1 src1_sel:DWORD
	v_add_f16_e32 v1, v25, v1
	v_mul_f16_e32 v78, 0x3964, v32
	v_fma_f16 v25, v34, s11, v66
	v_pk_add_f16 v35, v8, v16 neg_lo:[0,1] neg_hi:[0,1]
	v_add_f16_e32 v14, v25, v14
	v_fma_f16 v25, v69, s11, -v78
	v_pk_add_f16 v42, v16, v8
	v_mul_f16_sdwa v56, v35, s17 dst_sel:DWORD dst_unused:UNUSED_PAD src0_sel:WORD_1 src1_sel:DWORD
	v_add_f16_e32 v24, v25, v24
	v_fma_f16 v25, v42, s19, v56
	v_lshrrev_b32_e32 v73, 16, v42
	v_mul_f16_e32 v65, 0x3bb2, v35
	v_add_f16_e32 v0, v25, v0
	v_fma_f16 v25, v73, s22, -v65
	v_mul_f16_sdwa v71, v35, s27 dst_sel:DWORD dst_unused:UNUSED_PAD src0_sel:WORD_1 src1_sel:DWORD
	v_add_f16_e32 v1, v25, v1
	v_fma_f16 v25, v42, s10, v71
	v_mul_f16_e32 v80, 0xb5c8, v35
	s_mov_b32 s25, 0xb836
	v_pk_add_f16 v45, v9, v15 neg_lo:[0,1] neg_hi:[0,1]
	v_add_f16_e32 v14, v25, v14
	v_fma_f16 v25, v73, s10, -v80
	v_pk_add_f16 v48, v15, v9
	v_mul_f16_sdwa v63, v45, s25 dst_sel:DWORD dst_unused:UNUSED_PAD src0_sel:WORD_1 src1_sel:DWORD
	v_add_f16_e32 v24, v25, v24
	v_fma_f16 v25, v48, s24, v63
	v_lshrrev_b32_e32 v76, 16, v48
	v_mul_f16_e32 v72, 0x3b29, v45
	v_add_f16_e32 v43, v25, v0
	v_fma_f16 v0, v76, s16, -v72
	v_mul_f16_sdwa v75, v45, s28 dst_sel:DWORD dst_unused:UNUSED_PAD src0_sel:WORD_1 src1_sel:DWORD
	v_mul_f16_e32 v86, 0xbbf7, v45
	v_pk_add_f16 v61, v10, v11 neg_lo:[0,1] neg_hi:[0,1]
	v_add_f16_e32 v25, v0, v1
	v_fma_f16 v0, v48, s18, v75
	v_fma_f16 v1, v76, s18, -v86
	v_pk_add_f16 v67, v11, v10
	v_mul_f16_sdwa v98, v61, s25 dst_sel:DWORD dst_unused:UNUSED_PAD src0_sel:WORD_1 src1_sel:DWORD
	v_add_f16_e32 v0, v0, v14
	v_add_f16_e32 v14, v1, v24
	s_mov_b32 s8, 0xbbf7b964
	s_mov_b32 s9, 0x3722b8d2
	s_mov_b32 s14, 0x2de8bbdd
	s_mov_b32 s15, 0xb461bacd
	v_fma_f16 v24, v67, s24, v98
	v_lshrrev_b32_e32 v100, 16, v67
	v_mul_f16_e32 v90, 0x35c8, v61
	s_mov_b32 s2, 0x3b7639e9
	s_mov_b32 s30, 0xba62bb29
	v_pk_mul_f16 v88, v27, s8
	v_pk_mul_f16 v89, v29, s9
	v_pk_mul_f16 v94, v31, s14
	v_pk_mul_f16 v95, v34, s15
	v_add_f16_e32 v0, v24, v0
	v_fma_f16 v24, v100, s10, -v90
	v_mul_f16_e32 v101, 0xb836, v61
	s_load_dwordx2 s[8:9], s[4:5], 0x20
	s_load_dwordx2 s[14:15], s[4:5], 0x8
	s_mov_b32 s5, 0xb1e1
	s_mov_b32 s3, 0xb964b5c8
	v_pk_mul_f16 v44, v21, s2
	v_pk_fma_f16 v81, v26, s30, v89 op_sel:[0,0,1] op_sel_hi:[1,1,0]
	v_add_f16_e32 v25, v24, v25
	v_fma_f16 v24, v100, s24, -v101
	v_pk_fma_f16 v93, v26, s30, v89 op_sel:[0,0,1] op_sel_hi:[1,1,0] neg_lo:[1,0,0] neg_hi:[1,0,0]
	v_mul_f16_sdwa v89, v61, s5 dst_sel:DWORD dst_unused:UNUSED_PAD src0_sel:WORD_1 src1_sel:DWORD
	s_mov_b32 s29, 0x2de839e9
	v_pk_fma_f16 v77, v19, s3, v44 op_sel:[0,0,1] op_sel_hi:[1,1,0]
	v_add_f16_e32 v24, v24, v14
	v_pk_fma_f16 v91, v19, s3, v44 op_sel:[0,0,1] op_sel_hi:[1,1,0] neg_lo:[1,0,0] neg_hi:[1,0,0]
	v_fma_f16 v14, v67, s21, v89
	v_pk_fma_f16 v79, v22, s29, v88
	v_add_f16_sdwa v1, v77, v2 dst_sel:DWORD dst_unused:UNUSED_PAD src0_sel:WORD_1 src1_sel:DWORD
	v_pk_fma_f16 v92, v22, s29, v88 neg_lo:[0,0,1] neg_hi:[0,0,1]
	v_add_f16_e32 v14, v14, v43
	v_add_f16_sdwa v43, v91, v2 dst_sel:DWORD dst_unused:UNUSED_PAD src0_sel:DWORD src1_sel:WORD_1
	s_mov_b32 s35, 0xb1e1bbf7
	v_add_f16_sdwa v1, v79, v1 dst_sel:DWORD dst_unused:UNUSED_PAD src0_sel:WORD_1 src1_sel:DWORD
	v_add_f16_e32 v43, v92, v43
	s_mov_b32 s36, 0x3836bbb2
	s_mov_b32 s37, 0xb8d2b461
	v_add_f16_sdwa v1, v81, v1 dst_sel:DWORD dst_unused:UNUSED_PAD src0_sel:WORD_1 src1_sel:DWORD
	v_pk_fma_f16 v82, v28, s35, v94 op_sel:[0,0,1] op_sel_hi:[1,1,0]
	v_pk_fma_f16 v94, v28, s35, v94 op_sel:[0,0,1] op_sel_hi:[1,1,0] neg_lo:[1,0,0] neg_hi:[1,0,0]
	v_add_f16_e32 v43, v93, v43
	s_mov_b32 s38, 0x3bb2ba62
	s_mov_b32 s39, 0xbacd3722
	v_add_f16_sdwa v1, v82, v1 dst_sel:DWORD dst_unused:UNUSED_PAD src0_sel:WORD_1 src1_sel:DWORD
	v_pk_fma_f16 v83, v32, s36, v95 op_sel:[0,0,1] op_sel_hi:[1,1,0]
	v_pk_mul_f16 v96, v42, s37
	v_pk_fma_f16 v95, v32, s36, v95 op_sel:[0,0,1] op_sel_hi:[1,1,0] neg_lo:[1,0,0] neg_hi:[1,0,0]
	v_add_f16_e32 v43, v94, v43
	s_mov_b32 s40, 0x3b29b836
	s_mov_b32 s41, 0xbbdd3b76
	v_add_f16_sdwa v1, v83, v1 dst_sel:DWORD dst_unused:UNUSED_PAD src0_sel:WORD_1 src1_sel:DWORD
	v_pk_fma_f16 v84, v35, s38, v96 op_sel:[0,0,1] op_sel_hi:[1,1,0]
	v_pk_mul_f16 v97, v48, s39
	v_pk_fma_f16 v96, v35, s38, v96 op_sel:[0,0,1] op_sel_hi:[1,1,0] neg_lo:[1,0,0] neg_hi:[1,0,0]
	v_add_f16_e32 v43, v95, v43
	s_mov_b32 s42, 0x35c8b1e1
	v_add_f16_sdwa v1, v84, v1 dst_sel:DWORD dst_unused:UNUSED_PAD src0_sel:WORD_1 src1_sel:DWORD
	v_pk_fma_f16 v85, v45, s40, v97 op_sel:[0,0,1] op_sel_hi:[1,1,0]
	v_pk_mul_f16 v99, v67, s41
	v_pk_fma_f16 v97, v45, s40, v97 op_sel:[0,0,1] op_sel_hi:[1,1,0] neg_lo:[1,0,0] neg_hi:[1,0,0]
	v_add_f16_e32 v43, v96, v43
	v_add_f16_sdwa v1, v85, v1 dst_sel:DWORD dst_unused:UNUSED_PAD src0_sel:WORD_1 src1_sel:DWORD
	v_pk_fma_f16 v87, v61, s42, v99 op_sel:[0,0,1] op_sel_hi:[1,1,0]
	v_pk_fma_f16 v99, v61, s42, v99 op_sel:[0,0,1] op_sel_hi:[1,1,0] neg_lo:[1,0,0] neg_hi:[1,0,0]
	v_add_f16_e32 v43, v97, v43
	v_add_f16_sdwa v1, v87, v1 dst_sel:DWORD dst_unused:UNUSED_PAD src0_sel:WORD_1 src1_sel:DWORD
	s_movk_i32 s35, 0x3836
	s_movk_i32 s4, 0x3b29
	v_add_f16_e32 v44, v99, v43
	s_movk_i32 s29, 0x35c8
	v_mul_lo_u16_e32 v41, 17, v39
	s_waitcnt lgkmcnt(0)
	s_barrier
	s_and_saveexec_b64 s[2:3], s[0:1]
	s_cbranch_execz .LBB0_7
; %bb.6:
	v_mul_f16_e32 v102, 0x2de8, v57
	s_movk_i32 s30, 0x3bf7
	v_fma_f16 v88, v19, s30, v102
	v_mul_f16_e32 v103, 0xbbdd, v22
	v_add_f16_sdwa v88, v88, v2 dst_sel:DWORD dst_unused:UNUSED_PAD src0_sel:DWORD src1_sel:WORD_1
	v_fma_f16 v104, v27, s34, v103
	v_add_f16_e32 v88, v104, v88
	v_mul_f16_e32 v104, 0xb461, v62
	v_fma_f16 v105, v26, s20, v104
	v_add_f16_e32 v88, v105, v88
	v_mul_f16_e32 v105, 0x3b76, v64
	;; [unrolled: 3-line block ×6, first 2 shown]
	v_fma_f16 v110, v61, s31, v109
	v_add_f16_e32 v88, v110, v88
	v_mul_f16_sdwa v110, v19, s28 dst_sel:DWORD dst_unused:UNUSED_PAD src0_sel:WORD_1 src1_sel:DWORD
	v_fma_f16 v111, v21, s18, v110
	v_mul_f16_sdwa v112, v27, s5 dst_sel:DWORD dst_unused:UNUSED_PAD src0_sel:WORD_1 src1_sel:DWORD
	v_add_f16_e32 v111, v111, v2
	v_fma_f16 v113, v54, s21, v112
	v_add_f16_e32 v111, v113, v111
	v_mul_f16_sdwa v113, v26, s33 dst_sel:DWORD dst_unused:UNUSED_PAD src0_sel:WORD_1 src1_sel:DWORD
	v_fma_f16 v114, v29, s22, v113
	v_add_f16_e32 v111, v114, v111
	v_mul_f16_sdwa v114, v28, s29 dst_sel:DWORD dst_unused:UNUSED_PAD src0_sel:WORD_1 src1_sel:DWORD
	;; [unrolled: 3-line block ×4, first 2 shown]
	v_fma_f16 v117, v42, s24, v116
	s_movk_i32 s36, 0x3a62
	v_add_f16_e32 v111, v117, v111
	v_mul_f16_sdwa v117, v45, s36 dst_sel:DWORD dst_unused:UNUSED_PAD src0_sel:WORD_1 src1_sel:DWORD
	v_fma_f16 v118, v48, s19, v117
	v_add_f16_e32 v111, v118, v111
	v_mul_f16_sdwa v118, v61, s23 dst_sel:DWORD dst_unused:UNUSED_PAD src0_sel:WORD_1 src1_sel:DWORD
	v_fma_f16 v119, v67, s11, v118
	v_add_f16_e32 v111, v119, v111
	v_mul_f16_e32 v119, 0xb461, v57
	v_fma_f16 v120, v19, s33, v119
	v_mul_f16_e32 v121, 0xbacd, v22
	v_add_f16_sdwa v120, v120, v2 dst_sel:DWORD dst_unused:UNUSED_PAD src0_sel:DWORD src1_sel:WORD_1
	v_fma_f16 v122, v27, s25, v121
	v_add_f16_e32 v120, v122, v120
	v_mul_f16_e32 v122, 0x39e9, v62
	v_fma_f16 v123, v26, s31, v122
	v_add_f16_e32 v120, v123, v120
	v_mul_f16_e32 v123, 0x3722, v64
	;; [unrolled: 3-line block ×6, first 2 shown]
	v_fma_f16 v128, v61, s36, v127
	v_add_f16_e32 v120, v128, v120
	v_mul_f16_sdwa v128, v19, s20 dst_sel:DWORD dst_unused:UNUSED_PAD src0_sel:WORD_1 src1_sel:DWORD
	v_fma_f16 v129, v21, s22, v128
	v_mul_f16_sdwa v130, v27, s35 dst_sel:DWORD dst_unused:UNUSED_PAD src0_sel:WORD_1 src1_sel:DWORD
	v_add_f16_e32 v129, v129, v2
	v_fma_f16 v131, v54, s24, v130
	v_add_f16_e32 v129, v131, v129
	v_mul_f16_sdwa v131, v26, s23 dst_sel:DWORD dst_unused:UNUSED_PAD src0_sel:WORD_1 src1_sel:DWORD
	v_fma_f16 v132, v29, s11, v131
	v_add_f16_e32 v129, v132, v129
	v_mul_f16_sdwa v132, v28, s26 dst_sel:DWORD dst_unused:UNUSED_PAD src0_sel:WORD_1 src1_sel:DWORD
	;; [unrolled: 3-line block ×6, first 2 shown]
	v_fma_f16 v137, v67, s19, v136
	v_add_f16_e32 v129, v137, v129
	v_mul_f16_e32 v137, 0xb8d2, v57
	v_fma_f16 v138, v19, s36, v137
	v_mul_f16_e32 v139, 0xb461, v22
	v_add_f16_sdwa v138, v138, v2 dst_sel:DWORD dst_unused:UNUSED_PAD src0_sel:DWORD src1_sel:WORD_1
	v_fma_f16 v140, v27, s20, v139
	v_add_f16_e32 v138, v140, v138
	v_mul_f16_e32 v140, 0x3b76, v62
	v_fma_f16 v141, v26, s29, v140
	v_add_f16_e32 v138, v141, v138
	v_mul_f16_e32 v141, 0xbacd, v64
	;; [unrolled: 3-line block ×6, first 2 shown]
	v_fma_f16 v146, v61, s26, v145
	v_add_f16_e32 v138, v146, v138
	v_mul_f16_sdwa v146, v19, s17 dst_sel:DWORD dst_unused:UNUSED_PAD src0_sel:WORD_1 src1_sel:DWORD
	v_fma_f16 v102, v19, s28, v102
	v_fma_f16 v147, v21, s19, v146
	v_mul_f16_sdwa v148, v27, s33 dst_sel:DWORD dst_unused:UNUSED_PAD src0_sel:WORD_1 src1_sel:DWORD
	v_add_f16_sdwa v102, v102, v2 dst_sel:DWORD dst_unused:UNUSED_PAD src0_sel:DWORD src1_sel:WORD_1
	v_fma_f16 v103, v27, s5, v103
	v_add_f16_e32 v147, v147, v2
	v_fma_f16 v149, v54, s22, v148
	v_add_f16_e32 v102, v103, v102
	;; [unrolled: 2-line block ×3, first 2 shown]
	v_mul_f16_sdwa v149, v26, s27 dst_sel:DWORD dst_unused:UNUSED_PAD src0_sel:WORD_1 src1_sel:DWORD
	v_add_f16_e32 v102, v103, v102
	v_fma_f16 v103, v28, s29, v105
	v_fma_f16 v150, v29, s10, v149
	v_add_f16_e32 v102, v103, v102
	v_fma_f16 v103, v32, s26, v106
	v_add_f16_e32 v147, v150, v147
	v_mul_f16_sdwa v150, v28, s25 dst_sel:DWORD dst_unused:UNUSED_PAD src0_sel:WORD_1 src1_sel:DWORD
	v_add_f16_e32 v102, v103, v102
	v_fma_f16 v103, v35, s25, v107
	v_fma_f16 v151, v31, s24, v150
	v_add_f16_e32 v102, v103, v102
	v_fma_f16 v103, v45, s36, v108
	v_add_f16_e32 v147, v151, v147
	v_mul_f16_sdwa v151, v32, s30 dst_sel:DWORD dst_unused:UNUSED_PAD src0_sel:WORD_1 src1_sel:DWORD
	v_add_f16_e32 v102, v103, v102
	v_fma_f16 v103, v61, s23, v109
	v_fma_f16 v152, v34, s18, v151
	v_add_f16_e32 v102, v103, v102
	v_fma_f16 v103, v21, s18, -v110
	v_add_f16_e32 v147, v152, v147
	v_mul_f16_sdwa v152, v35, s31 dst_sel:DWORD dst_unused:UNUSED_PAD src0_sel:WORD_1 src1_sel:DWORD
	v_add_f16_e32 v103, v103, v2
	v_fma_f16 v104, v54, s21, -v112
	v_fma_f16 v153, v42, s11, v152
	v_add_f16_e32 v103, v104, v103
	v_fma_f16 v104, v29, s22, -v113
	v_add_f16_e32 v147, v153, v147
	v_mul_f16_sdwa v153, v45, s5 dst_sel:DWORD dst_unused:UNUSED_PAD src0_sel:WORD_1 src1_sel:DWORD
	v_add_f16_e32 v103, v104, v103
	v_fma_f16 v104, v31, s10, -v114
	;; [unrolled: 7-line block ×3, first 2 shown]
	v_fma_f16 v155, v67, s16, v154
	v_add_f16_e32 v103, v104, v103
	v_fma_f16 v104, v48, s19, -v117
	v_add_f16_e32 v147, v155, v147
	v_mul_f16_e32 v155, 0xbacd, v57
	v_add_f16_e32 v103, v104, v103
	v_fma_f16 v105, v67, s11, -v118
	v_fma_f16 v156, v19, s35, v155
	v_mul_f16_e32 v157, 0x3722, v22
	v_add_f16_e32 v103, v105, v103
	v_mul_f16_e32 v105, 0x3722, v57
	v_add_f16_sdwa v156, v156, v2 dst_sel:DWORD dst_unused:UNUSED_PAD src0_sel:DWORD src1_sel:WORD_1
	v_fma_f16 v158, v27, s26, v157
	v_add_f16_e32 v60, v60, v105
	v_mul_f16_e32 v105, 0xb8d2, v22
	v_add_f16_e32 v156, v158, v156
	v_mul_f16_e32 v158, 0x2de8, v62
	v_add_f16_e32 v68, v68, v105
	v_add_f16_sdwa v60, v60, v2 dst_sel:DWORD dst_unused:UNUSED_PAD src0_sel:DWORD src1_sel:WORD_1
	v_fma_f16 v159, v26, s30, v158
	v_add_f16_e32 v60, v68, v60
	v_mul_f16_e32 v68, 0xbbdd, v62
	v_add_f16_e32 v156, v159, v156
	v_mul_f16_e32 v159, 0xb8d2, v64
	v_add_f16_e32 v68, v70, v68
	v_fma_f16 v160, v28, s17, v159
	v_alignbit_b32 v104, v2, v2, 16
	v_add_f16_e32 v60, v68, v60
	v_mul_f16_e32 v68, 0xb461, v64
	v_add_f16_e32 v156, v160, v156
	v_mul_f16_e32 v160, 0x3b76, v69
	v_alignbit_b32 v38, v38, v38, 16
	v_add_f16_e32 v68, v74, v68
	v_pk_add_f16 v3, v3, v104 op_sel:[0,1] op_sel_hi:[1,0]
	v_fma_f16 v161, v32, s29, v160
	v_add_f16_e32 v60, v68, v60
	v_mul_f16_e32 v68, 0x39e9, v69
	v_pk_add_f16 v3, v38, v3
	v_add_f16_e32 v156, v161, v156
	v_mul_f16_e32 v161, 0xbbdd, v73
	v_add_f16_e32 v68, v78, v68
	v_pk_add_f16 v3, v20, v3
	v_fma_f16 v162, v35, s34, v161
	v_mul_f16_e32 v57, 0x39e9, v57
	v_add_f16_e32 v60, v68, v60
	v_mul_f16_e32 v68, 0x3b76, v73
	v_pk_add_f16 v3, v17, v3
	v_add_f16_e32 v156, v162, v156
	v_mul_f16_e32 v162, 0x39e9, v76
	v_fma_f16 v155, v19, s25, v155
	v_fma_f16 v137, v19, s17, v137
	;; [unrolled: 1-line block ×3, first 2 shown]
	v_mul_f16_e32 v78, 0x2de8, v22
	v_add_f16_e32 v68, v80, v68
	v_add_f16_e32 v36, v36, v57
	v_pk_add_f16 v3, v18, v3
	v_fma_f16 v163, v45, s31, v162
	v_add_f16_sdwa v155, v155, v2 dst_sel:DWORD dst_unused:UNUSED_PAD src0_sel:DWORD src1_sel:WORD_1
	v_fma_f16 v157, v27, s4, v157
	v_add_f16_sdwa v137, v137, v2 dst_sel:DWORD dst_unused:UNUSED_PAD src0_sel:DWORD src1_sel:WORD_1
	;; [unrolled: 2-line block ×3, first 2 shown]
	v_fma_f16 v121, v27, s35, v121
	v_mul_f16_e32 v62, 0xb8d2, v62
	v_add_f16_e32 v60, v68, v60
	v_mul_f16_e32 v68, 0x2de8, v76
	v_add_f16_sdwa v36, v36, v2 dst_sel:DWORD dst_unused:UNUSED_PAD src0_sel:DWORD src1_sel:WORD_1
	v_add_f16_e32 v46, v46, v78
	v_pk_add_f16 v3, v8, v3
	v_add_f16_e32 v156, v163, v156
	v_mul_f16_e32 v163, 0xb461, v100
	v_mul_f16_sdwa v166, v27, s4 dst_sel:DWORD dst_unused:UNUSED_PAD src0_sel:WORD_1 src1_sel:DWORD
	v_add_f16_e32 v155, v157, v155
	v_fma_f16 v157, v26, s28, v158
	v_add_f16_e32 v137, v139, v137
	v_fma_f16 v139, v26, s27, v140
	;; [unrolled: 2-line block ×3, first 2 shown]
	v_mul_f16_e32 v70, 0x3722, v21
	v_add_f16_e32 v68, v86, v68
	v_mul_f16_e32 v64, 0xbbdd, v64
	v_add_f16_e32 v36, v46, v36
	v_add_f16_e32 v46, v50, v62
	v_pk_add_f16 v3, v9, v3
	v_fma_f16 v164, v61, s33, v163
	v_fma_f16 v167, v54, s16, v166
	v_add_f16_e32 v155, v157, v155
	v_fma_f16 v157, v28, s36, v159
	v_fma_f16 v158, v54, s16, -v166
	v_add_f16_e32 v137, v139, v137
	v_fma_f16 v139, v28, s25, v141
	v_fma_f16 v140, v54, s22, -v148
	;; [unrolled: 3-line block ×3, first 2 shown]
	v_mul_f16_e32 v74, 0x39e9, v54
	v_mul_f16_e32 v54, 0xb8d2, v54
	v_add_f16_e32 v60, v68, v60
	v_mul_f16_e32 v68, 0xbacd, v100
	v_sub_f16_e32 v49, v70, v49
	v_mul_f16_e32 v69, 0xbacd, v69
	v_add_f16_e32 v36, v46, v36
	v_add_f16_e32 v46, v53, v64
	v_pk_add_f16 v3, v10, v3
	v_add_f16_e32 v156, v164, v156
	v_mul_f16_sdwa v164, v19, s25 dst_sel:DWORD dst_unused:UNUSED_PAD src0_sel:WORD_1 src1_sel:DWORD
	v_add_f16_e32 v155, v157, v155
	v_fma_f16 v157, v32, s27, v160
	v_add_f16_e32 v137, v139, v137
	v_fma_f16 v139, v32, s30, v142
	;; [unrolled: 2-line block ×3, first 2 shown]
	v_mul_f16_e32 v86, 0xbbdd, v29
	v_add_f16_e32 v68, v101, v68
	v_sub_f16_e32 v52, v54, v52
	v_add_f16_e32 v49, v49, v2
	v_mul_f16_e32 v73, 0xb461, v73
	v_add_f16_e32 v36, v46, v36
	v_add_f16_e32 v46, v58, v69
	v_pk_add_f16 v3, v11, v3
	v_fma_f16 v165, v21, s24, v164
	v_add_f16_e32 v155, v157, v155
	v_fma_f16 v157, v35, s5, v161
	v_add_f16_e32 v137, v139, v137
	;; [unrolled: 2-line block ×4, first 2 shown]
	v_mul_f16_e32 v68, 0xb461, v31
	v_add_f16_e32 v49, v52, v49
	v_sub_f16_e32 v55, v86, v55
	v_mul_f16_e32 v76, 0x3722, v76
	v_add_f16_e32 v36, v46, v36
	v_add_f16_e32 v46, v65, v73
	v_pk_add_f16 v3, v15, v3
	v_add_f16_e32 v165, v165, v2
	v_add_f16_e32 v155, v157, v155
	v_fma_f16 v157, v45, s23, v162
	v_add_f16_e32 v137, v139, v137
	v_fma_f16 v139, v45, s5, v144
	v_add_f16_e32 v119, v121, v119
	v_fma_f16 v121, v45, s27, v126
	v_mul_f16_e32 v54, 0x39e9, v34
	v_add_f16_e32 v49, v55, v49
	v_sub_f16_e32 v59, v68, v59
	v_mul_f16_e32 v100, 0x3b76, v100
	v_add_f16_e32 v36, v46, v36
	v_add_f16_e32 v46, v72, v76
	v_pk_add_f16 v3, v16, v3
	v_add_f16_e32 v165, v167, v165
	v_mul_f16_sdwa v167, v26, s28 dst_sel:DWORD dst_unused:UNUSED_PAD src0_sel:WORD_1 src1_sel:DWORD
	v_add_f16_e32 v155, v157, v155
	v_fma_f16 v157, v61, s20, v163
	v_add_f16_e32 v137, v139, v137
	v_fma_f16 v139, v61, s4, v145
	;; [unrolled: 2-line block ×3, first 2 shown]
	v_mul_f16_e32 v105, 0x3b76, v21
	v_mul_f16_e32 v86, 0x3b76, v42
	v_add_f16_e32 v49, v59, v49
	v_sub_f16_e32 v54, v54, v66
	v_add_f16_e32 v36, v46, v36
	v_add_f16_e32 v46, v90, v100
	s_mov_b32 s26, 0xffff
	v_pk_add_f16 v3, v6, v3
	v_fma_f16 v168, v29, s18, v167
	v_add_f16_e32 v155, v157, v155
	v_fma_f16 v157, v21, s24, -v164
	v_add_f16_e32 v137, v139, v137
	v_fma_f16 v139, v21, s19, -v146
	;; [unrolled: 2-line block ×3, first 2 shown]
	v_mul_f16_e32 v68, 0x2de8, v48
	v_add_f16_e32 v49, v54, v49
	v_sub_f16_e32 v54, v86, v71
	v_add_f16_e32 v36, v46, v36
	v_bfi_b32 v46, s26, v77, v91
	v_sub_f16_e32 v30, v105, v30
	v_pk_add_f16 v3, v7, v3
	v_add_f16_e32 v165, v168, v165
	v_mul_f16_sdwa v168, v28, s36 dst_sel:DWORD dst_unused:UNUSED_PAD src0_sel:WORD_1 src1_sel:DWORD
	v_add_f16_e32 v157, v157, v2
	v_add_f16_e32 v139, v139, v2
	v_add_f16_e32 v121, v121, v2
	v_mul_f16_e32 v80, 0x3722, v29
	v_mul_f16_e32 v66, 0xbacd, v67
	v_add_f16_e32 v49, v54, v49
	v_sub_f16_e32 v54, v68, v75
	v_bfi_b32 v50, s26, v79, v92
	v_add_f16_e32 v2, v30, v2
	v_sub_f16_e32 v30, v74, v33
	v_pk_add_f16 v3, v4, v3
	v_pk_add_f16 v4, v46, v104
	v_fma_f16 v169, v31, s19, v168
	v_mul_f16_e32 v101, 0x2de8, v31
	v_add_f16_e32 v49, v54, v49
	v_sub_f16_e32 v54, v66, v98
	v_bfi_b32 v53, s26, v81, v93
	v_add_f16_e32 v2, v30, v2
	v_sub_f16_e32 v30, v80, v37
	v_pk_add_f16 v4, v50, v4
	v_add_f16_e32 v165, v169, v165
	v_mul_f16_sdwa v169, v32, s27 dst_sel:DWORD dst_unused:UNUSED_PAD src0_sel:WORD_1 src1_sel:DWORD
	v_mul_f16_e32 v70, 0xb461, v34
	v_add_f16_e32 v49, v54, v49
	v_bfi_b32 v54, s26, v82, v94
	v_add_f16_e32 v2, v30, v2
	v_sub_f16_e32 v30, v101, v47
	v_pk_add_f16 v4, v53, v4
	v_fma_f16 v170, v34, s10, v169
	v_add_f16_e32 v139, v140, v139
	v_fma_f16 v140, v29, s10, -v149
	v_add_f16_e32 v121, v122, v121
	v_fma_f16 v122, v29, s11, -v131
	v_mul_f16_e32 v52, 0xb8d2, v42
	v_bfi_b32 v57, s26, v83, v95
	v_add_f16_e32 v2, v30, v2
	v_sub_f16_e32 v30, v70, v51
	v_pk_add_f16 v4, v54, v4
	v_add_f16_e32 v165, v170, v165
	v_mul_f16_sdwa v170, v35, s5 dst_sel:DWORD dst_unused:UNUSED_PAD src0_sel:WORD_1 src1_sel:DWORD
	v_add_f16_e32 v157, v158, v157
	v_fma_f16 v158, v29, s18, -v167
	v_add_f16_e32 v139, v140, v139
	v_fma_f16 v140, v31, s24, -v150
	;; [unrolled: 2-line block ×3, first 2 shown]
	v_mul_f16_e32 v55, 0xbacd, v48
	v_bfi_b32 v58, s26, v84, v96
	v_add_f16_e32 v2, v30, v2
	v_sub_f16_e32 v30, v52, v56
	v_pk_add_f16 v4, v57, v4
	v_fma_f16 v171, v42, s21, v170
	v_add_f16_e32 v157, v158, v157
	v_fma_f16 v158, v31, s19, -v168
	v_add_f16_e32 v139, v140, v139
	v_fma_f16 v140, v34, s18, -v151
	;; [unrolled: 2-line block ×3, first 2 shown]
	v_mul_f16_e32 v59, 0xbbdd, v67
	v_bfi_b32 v62, s26, v85, v97
	v_add_f16_e32 v2, v30, v2
	v_sub_f16_e32 v30, v55, v63
	v_pk_add_f16 v4, v58, v4
	v_add_f16_e32 v165, v171, v165
	v_mul_f16_sdwa v171, v45, s23 dst_sel:DWORD dst_unused:UNUSED_PAD src0_sel:WORD_1 src1_sel:DWORD
	v_add_f16_e32 v157, v158, v157
	v_fma_f16 v158, v34, s10, -v169
	v_add_f16_e32 v139, v140, v139
	v_fma_f16 v140, v42, s11, -v152
	;; [unrolled: 2-line block ×3, first 2 shown]
	v_bfi_b32 v64, s26, v87, v99
	v_add_f16_e32 v2, v30, v2
	v_sub_f16_e32 v30, v59, v89
	v_pk_add_f16 v4, v62, v4
	v_fma_f16 v172, v48, s11, v171
	v_add_f16_e32 v157, v158, v157
	v_fma_f16 v158, v42, s21, -v170
	v_add_f16_e32 v139, v140, v139
	v_fma_f16 v140, v48, s21, -v153
	;; [unrolled: 2-line block ×3, first 2 shown]
	v_add_f16_e32 v2, v30, v2
	v_pk_add_f16 v4, v64, v4
	v_add_f16_e32 v165, v172, v165
	v_mul_f16_sdwa v172, v61, s20 dst_sel:DWORD dst_unused:UNUSED_PAD src0_sel:WORD_1 src1_sel:DWORD
	v_add_f16_e32 v157, v158, v157
	v_fma_f16 v158, v48, s11, -v171
	v_add_f16_e32 v139, v140, v139
	v_fma_f16 v140, v67, s16, -v154
	;; [unrolled: 2-line block ×3, first 2 shown]
	v_add_lshl_u32 v17, v23, v41, 2
	v_pk_add_f16 v3, v5, v3
	v_alignbit_b32 v5, v36, v4, 16
	v_pack_b32_f16 v2, v2, v4
	v_add_f16_e32 v157, v158, v157
	v_fma_f16 v158, v67, s22, -v172
	v_add_f16_e32 v139, v140, v139
	v_add_f16_e32 v121, v122, v121
	ds_write2_b32 v17, v2, v5 offset0:1 offset1:2
	v_pack_b32_f16 v2, v49, v60
	v_pack_b32_f16 v4, v103, v102
	v_add_f16_e32 v157, v158, v157
	ds_write2_b32 v17, v2, v4 offset0:3 offset1:4
	v_pack_b32_f16 v2, v139, v137
	v_pack_b32_f16 v4, v121, v119
	v_pk_add_f16 v3, v13, v3
	ds_write2_b32 v17, v4, v2 offset0:5 offset1:6
	v_pack_b32_f16 v2, v157, v155
	ds_write2_b32 v17, v3, v2 offset1:7
	v_pk_mul_f16 v2, v21, s21 op_sel_hi:[1,0]
	v_pk_fma_f16 v3, v19, s5, v2 op_sel:[0,0,1] op_sel_hi:[1,0,0] neg_lo:[1,0,0] neg_hi:[1,0,0]
	v_pk_mul_f16 v4, v27, s29 op_sel_hi:[1,0]
	v_pk_add_f16 v3, v3, v104
	v_pk_fma_f16 v5, v22, s10, v4 op_sel_hi:[1,0,1] neg_lo:[0,0,1] neg_hi:[0,0,1]
	v_pk_add_f16 v3, v5, v3
	v_pk_mul_f16 v5, v29, s24 op_sel_hi:[1,0]
	v_pk_fma_f16 v6, v26, s25, v5 op_sel:[0,0,1] op_sel_hi:[1,0,0] neg_lo:[1,0,0] neg_hi:[1,0,0]
	v_pk_add_f16 v3, v6, v3
	v_pk_mul_f16 v6, v31, s11 op_sel_hi:[1,0]
	v_pk_fma_f16 v7, v28, s23, v6 op_sel:[0,0,1] op_sel_hi:[1,0,0] neg_lo:[1,0,0] neg_hi:[1,0,0]
	v_pk_add_f16 v3, v7, v3
	v_pk_mul_f16 v7, v34, s19 op_sel_hi:[1,0]
	v_pk_fma_f16 v2, v19, s5, v2 op_sel:[0,0,1] op_sel_hi:[1,0,0]
	v_pk_fma_f16 v8, v32, s17, v7 op_sel:[0,0,1] op_sel_hi:[1,0,0] neg_lo:[1,0,0] neg_hi:[1,0,0]
	v_pk_add_f16 v2, v2, v104
	v_pk_fma_f16 v4, v22, s10, v4 op_sel_hi:[1,0,1]
	v_pk_add_f16 v3, v8, v3
	v_pk_mul_f16 v8, v42, s16 op_sel_hi:[1,0]
	v_pk_add_f16 v2, v4, v2
	v_pk_fma_f16 v4, v26, s25, v5 op_sel:[0,0,1] op_sel_hi:[1,0,0]
	v_pk_fma_f16 v9, v35, s4, v8 op_sel:[0,0,1] op_sel_hi:[1,0,0] neg_lo:[1,0,0] neg_hi:[1,0,0]
	v_pk_add_f16 v2, v4, v2
	v_pk_fma_f16 v4, v28, s23, v6 op_sel:[0,0,1] op_sel_hi:[1,0,0]
	v_pk_add_f16 v3, v9, v3
	v_pk_mul_f16 v9, v48, s22 op_sel_hi:[1,0]
	v_pk_add_f16 v2, v4, v2
	v_pk_fma_f16 v4, v32, s17, v7 op_sel:[0,0,1] op_sel_hi:[1,0,0]
	v_pk_fma_f16 v10, v45, s20, v9 op_sel:[0,0,1] op_sel_hi:[1,0,0] neg_lo:[1,0,0] neg_hi:[1,0,0]
	v_pk_add_f16 v2, v4, v2
	v_pk_fma_f16 v4, v35, s4, v8 op_sel:[0,0,1] op_sel_hi:[1,0,0]
	;; [unrolled: 7-line block ×3, first 2 shown]
	v_fma_f16 v173, v67, s22, v172
	v_pk_add_f16 v3, v11, v3
	v_pk_add_f16 v2, v4, v2
	v_add_f16_e32 v165, v173, v165
	v_alignbit_b32 v4, v3, v2, 16
	v_alignbit_b32 v2, v2, v3, 16
	ds_write2_b32 v17, v2, v4 offset0:8 offset1:9
	v_pack_b32_f16 v2, v147, v138
	v_pack_b32_f16 v3, v165, v156
	ds_write2_b32 v17, v3, v2 offset0:10 offset1:11
	v_pack_b32_f16 v2, v111, v88
	v_pack_b32_f16 v3, v129, v120
	s_mov_b32 s4, 0x5040100
	ds_write2_b32 v17, v3, v2 offset0:12 offset1:13
	v_perm_b32 v2, v25, v1, s4
	v_perm_b32 v3, v24, v0, s4
	ds_write2_b32 v17, v3, v2 offset0:14 offset1:15
	v_perm_b32 v2, v44, v14, s4
	ds_write_b32 v17, v2 offset:64
.LBB0_7:
	s_or_b64 exec, exec, s[2:3]
	v_add_lshl_u32 v45, v23, v39, 2
	v_add_u32_e32 v4, 0x400, v45
	s_waitcnt lgkmcnt(0)
	s_barrier
	ds_read2_b32 v[15:16], v45 offset1:34
	ds_read2_b32 v[2:3], v45 offset0:204 offset1:255
	ds_read2_b32 v[21:22], v4 offset0:33 offset1:67
	;; [unrolled: 1-line block ×6, first 2 shown]
	v_cmp_gt_u16_e64 s[2:3], 17, v39
	s_and_saveexec_b64 s[4:5], s[2:3]
	s_cbranch_execz .LBB0_9
; %bb.8:
	v_add_u32_e32 v0, 0x3b8, v45
	ds_read2_b32 v[0:1], v0 offset1:255
	s_waitcnt lgkmcnt(0)
	v_lshrrev_b32_e32 v24, 16, v0
	v_lshrrev_b32_e32 v25, 16, v1
.LBB0_9:
	s_or_b64 exec, exec, s[4:5]
	v_add_co_u32_e32 v4, vcc, 34, v39
	v_addc_co_u32_e64 v5, s[4:5], 0, 0, vcc
	v_add_co_u32_e32 v8, vcc, 0x44, v39
	s_mov_b64 s[4:5], vcc
	v_add_co_u32_e32 v9, vcc, 0xffffffef, v39
	v_addc_co_u32_e64 v13, s[10:11], 0, -1, vcc
	v_cndmask_b32_e64 v32, v13, 0, s[2:3]
	v_cndmask_b32_e64 v31, v9, v39, s[2:3]
	s_movk_i32 s10, 0xf1
	v_lshlrev_b64 v[26:27], 2, v[31:32]
	v_mul_lo_u16_sdwa v30, v8, s10 dst_sel:DWORD dst_unused:UNUSED_PAD src0_sel:BYTE_0 src1_sel:DWORD
	v_lshrrev_b16_e32 v36, 12, v30
	v_add_co_u32_e32 v32, vcc, s14, v26
	v_mul_lo_u16_e32 v26, 17, v36
	v_sub_u16_e32 v37, v8, v26
	v_add_u16_e32 v26, 0x66, v39
	v_mul_lo_u16_sdwa v29, v26, s10 dst_sel:DWORD dst_unused:UNUSED_PAD src0_sel:BYTE_0 src1_sel:DWORD
	v_mov_b32_e32 v9, s15
	v_lshrrev_b16_e32 v42, 12, v29
	v_addc_co_u32_e32 v33, vcc, v9, v27, vcc
	v_mul_lo_u16_sdwa v9, v4, s10 dst_sel:DWORD dst_unused:UNUSED_PAD src0_sel:BYTE_0 src1_sel:DWORD
	v_mul_lo_u16_e32 v27, 17, v42
	v_lshrrev_b16_e32 v34, 12, v9
	v_sub_u16_e32 v58, v26, v27
	v_add_u16_e32 v27, 0x88, v39
	v_mul_lo_u16_e32 v9, 17, v34
	v_mul_lo_u16_sdwa v28, v27, s10 dst_sel:DWORD dst_unused:UNUSED_PAD src0_sel:BYTE_0 src1_sel:DWORD
	v_sub_u16_e32 v35, v4, v9
	v_mov_b32_e32 v9, 2
	v_lshrrev_b16_e32 v59, 12, v28
	v_lshlrev_b32_sdwa v38, v9, v37 dst_sel:DWORD dst_unused:UNUSED_PAD src0_sel:DWORD src1_sel:BYTE_0
	v_mul_lo_u16_e32 v47, 17, v59
	global_load_dword v48, v[32:33], off
	global_load_dword v50, v38, s[14:15]
	v_sub_u16_e32 v32, v27, v47
	v_lshlrev_b32_sdwa v13, v9, v35 dst_sel:DWORD dst_unused:UNUSED_PAD src0_sel:DWORD src1_sel:BYTE_0
	v_lshlrev_b32_sdwa v33, v9, v32 dst_sel:DWORD dst_unused:UNUSED_PAD src0_sel:DWORD src1_sel:BYTE_0
	global_load_dword v52, v33, s[14:15]
	v_add_u16_e32 v47, 0xaa, v39
	global_load_dword v49, v13, s[14:15]
	v_mul_lo_u16_sdwa v13, v47, s10 dst_sel:DWORD dst_unused:UNUSED_PAD src0_sel:BYTE_0 src1_sel:DWORD
	v_lshrrev_b16_e32 v60, 12, v13
	v_mul_lo_u16_e32 v13, 17, v60
	v_sub_u16_e32 v38, v47, v13
	v_lshlrev_b32_sdwa v46, v9, v58 dst_sel:DWORD dst_unused:UNUSED_PAD src0_sel:DWORD src1_sel:BYTE_0
	v_lshlrev_b32_sdwa v13, v9, v38 dst_sel:DWORD dst_unused:UNUSED_PAD src0_sel:DWORD src1_sel:BYTE_0
	v_add_u16_e32 v47, 0xcc, v39
	global_load_dword v51, v46, s[14:15]
	global_load_dword v53, v13, s[14:15]
	v_mul_lo_u16_sdwa v46, v47, s10 dst_sel:DWORD dst_unused:UNUSED_PAD src0_sel:BYTE_0 src1_sel:DWORD
	v_lshrrev_b16_e32 v61, 12, v46
	v_mul_lo_u16_e32 v46, 17, v61
	v_sub_u16_e32 v33, v47, v46
	v_lshlrev_b32_sdwa v9, v9, v33 dst_sel:DWORD dst_unused:UNUSED_PAD src0_sel:DWORD src1_sel:BYTE_0
	global_load_dword v54, v9, s[14:15]
	v_add_u32_e32 v46, 0xee, v39
	s_mov_b32 s10, 0xf0f1
	v_mul_u32_u24_sdwa v13, v46, s10 dst_sel:DWORD dst_unused:UNUSED_PAD src0_sel:WORD_0 src1_sel:DWORD
	v_lshrrev_b32_e32 v13, 20, v13
	v_mul_lo_u16_e32 v9, 17, v13
	v_sub_u16_e32 v140, v46, v9
	v_lshlrev_b32_e32 v9, 2, v140
	global_load_dword v47, v9, s[14:15]
	s_waitcnt lgkmcnt(5)
	v_lshrrev_b32_e32 v55, 16, v3
	s_waitcnt lgkmcnt(4)
	v_lshrrev_b32_e32 v57, 16, v21
	v_lshrrev_b32_e32 v63, 16, v22
	s_waitcnt lgkmcnt(2)
	v_lshrrev_b32_e32 v65, 16, v19
	;; [unrolled: 3-line block ×3, first 2 shown]
	v_lshrrev_b32_e32 v71, 16, v18
	v_lshrrev_b32_e32 v13, 16, v15
	v_cmp_lt_u16_e32 vcc, 16, v39
	v_lshrrev_b32_e32 v56, 16, v16
	s_load_dwordx4 s[8:11], s[8:9], 0x0
	s_waitcnt vmcnt(0) lgkmcnt(0)
	s_barrier
	v_lshrrev_b32_e32 v62, 16, v10
	v_lshrrev_b32_e32 v64, 16, v11
	;; [unrolled: 1-line block ×5, first 2 shown]
	v_addc_co_u32_e64 v9, s[4:5], 0, 0, s[4:5]
	v_mul_f16_sdwa v72, v55, v48 dst_sel:DWORD dst_unused:UNUSED_PAD src0_sel:DWORD src1_sel:WORD_1
	v_fma_f16 v72, v3, v48, -v72
	v_mul_f16_sdwa v3, v3, v48 dst_sel:DWORD dst_unused:UNUSED_PAD src0_sel:DWORD src1_sel:WORD_1
	v_fma_f16 v3, v55, v48, v3
	v_sub_f16_e32 v3, v13, v3
	v_mul_f16_sdwa v55, v57, v49 dst_sel:DWORD dst_unused:UNUSED_PAD src0_sel:DWORD src1_sel:WORD_1
	v_fma_f16 v55, v21, v49, -v55
	v_mul_f16_sdwa v21, v21, v49 dst_sel:DWORD dst_unused:UNUSED_PAD src0_sel:DWORD src1_sel:WORD_1
	v_fma_f16 v21, v57, v49, v21
	v_mul_f16_sdwa v57, v63, v50 dst_sel:DWORD dst_unused:UNUSED_PAD src0_sel:DWORD src1_sel:WORD_1
	v_fma_f16 v57, v22, v50, -v57
	v_mul_f16_sdwa v22, v22, v50 dst_sel:DWORD dst_unused:UNUSED_PAD src0_sel:DWORD src1_sel:WORD_1
	v_fma_f16 v22, v63, v50, v22
	;; [unrolled: 4-line block ×7, first 2 shown]
	v_sub_f16_e32 v25, v15, v72
	v_sub_f16_e32 v76, v6, v65
	v_sub_f16_e32 v65, v24, v1
	v_cndmask_b32_e64 v1, 0, 34, vcc
	v_fma_f16 v15, v15, 2.0, -v25
	v_fma_f16 v72, v13, 2.0, -v3
	v_add_u32_e32 v1, v31, v1
	v_add_lshl_u32 v159, v23, v1, 2
	v_pack_b32_f16 v1, v15, v72
	v_pack_b32_f16 v3, v25, v3
	v_sub_f16_e32 v73, v16, v55
	v_sub_f16_e32 v21, v56, v21
	ds_write2_b32 v159, v1, v3 offset1:17
	v_mad_legacy_u16 v1, v34, 34, v35
	v_fma_f16 v16, v16, 2.0, -v73
	v_fma_f16 v74, v56, 2.0, -v21
	v_and_b32_e32 v1, 0xff, v1
	v_add_lshl_u32 v152, v23, v1, 2
	v_pack_b32_f16 v1, v16, v74
	v_pack_b32_f16 v3, v73, v21
	v_sub_f16_e32 v75, v10, v57
	v_sub_f16_e32 v22, v62, v22
	ds_write2_b32 v152, v1, v3 offset1:17
	v_mul_u32_u24_e32 v1, 34, v36
	v_fma_f16 v10, v10, 2.0, -v75
	v_fma_f16 v62, v62, 2.0, -v22
	v_add_u32_sdwa v1, v1, v37 dst_sel:DWORD dst_unused:UNUSED_PAD src0_sel:DWORD src1_sel:BYTE_0
	v_add_lshl_u32 v153, v23, v1, 2
	v_pack_b32_f16 v1, v10, v62
	v_pack_b32_f16 v3, v75, v22
	v_sub_f16_e32 v63, v11, v63
	v_sub_f16_e32 v19, v64, v19
	ds_write2_b32 v153, v1, v3 offset1:17
	v_mul_u32_u24_e32 v1, 34, v42
	v_fma_f16 v11, v11, 2.0, -v63
	v_fma_f16 v64, v64, 2.0, -v19
	v_add_u32_sdwa v1, v1, v58 dst_sel:DWORD dst_unused:UNUSED_PAD src0_sel:DWORD src1_sel:BYTE_0
	v_add_lshl_u32 v154, v23, v1, 2
	v_pack_b32_f16 v1, v11, v64
	v_pack_b32_f16 v3, v63, v19
	v_sub_f16_e32 v20, v66, v20
	ds_write2_b32 v154, v1, v3 offset1:17
	v_mul_u32_u24_e32 v1, 34, v59
	v_fma_f16 v6, v6, 2.0, -v76
	v_fma_f16 v66, v66, 2.0, -v20
	v_add_u32_sdwa v1, v1, v32 dst_sel:DWORD dst_unused:UNUSED_PAD src0_sel:DWORD src1_sel:BYTE_0
	v_add_lshl_u32 v155, v23, v1, 2
	v_pack_b32_f16 v1, v6, v66
	v_pack_b32_f16 v3, v76, v20
	v_sub_f16_e32 v67, v7, v67
	v_sub_f16_e32 v17, v68, v17
	ds_write2_b32 v155, v1, v3 offset1:17
	v_mul_u32_u24_e32 v1, 34, v60
	v_fma_f16 v7, v7, 2.0, -v67
	v_fma_f16 v68, v68, 2.0, -v17
	v_add_u32_sdwa v1, v1, v38 dst_sel:DWORD dst_unused:UNUSED_PAD src0_sel:DWORD src1_sel:BYTE_0
	v_add_lshl_u32 v156, v23, v1, 2
	v_pack_b32_f16 v1, v7, v68
	v_pack_b32_f16 v3, v67, v17
	v_sub_f16_e32 v69, v2, v69
	v_sub_f16_e32 v18, v70, v18
	ds_write2_b32 v156, v1, v3 offset1:17
	v_mul_u32_u24_e32 v1, 34, v61
	v_fma_f16 v2, v2, 2.0, -v69
	v_fma_f16 v70, v70, 2.0, -v18
	v_add_u32_sdwa v1, v1, v33 dst_sel:DWORD dst_unused:UNUSED_PAD src0_sel:DWORD src1_sel:BYTE_0
	v_sub_f16_e32 v13, v0, v71
	v_add_lshl_u32 v157, v23, v1, 2
	v_pack_b32_f16 v1, v2, v70
	v_pack_b32_f16 v2, v69, v18
	ds_write2_b32 v157, v1, v2 offset1:17
	s_and_saveexec_b64 s[4:5], s[2:3]
	s_cbranch_execz .LBB0_11
; %bb.10:
	v_fma_f16 v0, v0, 2.0, -v13
	v_fma_f16 v1, v24, 2.0, -v65
	v_add_lshl_u32 v2, v23, v140, 2
	s_mov_b32 s16, 0x5040100
	v_pack_b32_f16 v0, v0, v1
	v_perm_b32 v1, v65, v13, s16
	v_add_u32_e32 v2, 0x400, v2
	ds_write2_b32 v2, v0, v1 offset0:220 offset1:237
.LBB0_11:
	s_or_b64 exec, exec, s[4:5]
	v_lshlrev_b32_e32 v0, 3, v39
	s_waitcnt lgkmcnt(0)
	s_barrier
	global_load_dwordx2 v[15:16], v0, s[14:15] offset:68
	v_lshrrev_b16_e32 v0, 13, v30
	v_mul_lo_u16_e32 v0, 34, v0
	v_sub_u16_e32 v0, v8, v0
	v_and_b32_e32 v30, 0xff, v0
	v_lshlrev_b32_e32 v0, 3, v30
	global_load_dwordx2 v[21:22], v0, s[14:15] offset:68
	v_lshrrev_b16_e32 v1, 13, v29
	v_mul_lo_u16_e32 v1, 34, v1
	v_sub_u16_e32 v0, v26, v1
	v_and_b32_e32 v31, 0xff, v0
	v_lshlrev_b32_e32 v0, 3, v31
	v_lshrrev_b16_e32 v2, 13, v28
	global_load_dwordx2 v[19:20], v0, s[14:15] offset:68
	v_mul_lo_u16_e32 v2, 34, v2
	v_sub_u16_e32 v0, v27, v2
	v_and_b32_e32 v32, 0xff, v0
	v_lshlrev_b32_e32 v0, 3, v32
	global_load_dwordx2 v[17:18], v0, s[14:15] offset:68
	ds_read2_b32 v[0:1], v45 offset1:34
	ds_read2_b32 v[2:3], v45 offset0:136 offset1:170
	v_add_u32_e32 v33, 0x400, v45
	ds_read2_b32 v[6:7], v45 offset0:204 offset1:238
	ds_read2_b32 v[10:11], v45 offset0:68 offset1:102
	ds_read_b32 v34, v45 offset:1904
	ds_read2_b32 v[24:25], v33 offset0:84 offset1:118
	ds_read2_b32 v[26:27], v33 offset0:152 offset1:186
	;; [unrolled: 1-line block ×3, first 2 shown]
	s_waitcnt lgkmcnt(5)
	v_lshrrev_b32_e32 v62, 16, v7
	v_lshrrev_b32_e32 v38, 16, v6
	;; [unrolled: 1-line block ×3, first 2 shown]
	s_waitcnt lgkmcnt(2)
	v_lshrrev_b32_e32 v67, 16, v24
	v_lshrrev_b32_e32 v68, 16, v25
	s_waitcnt lgkmcnt(1)
	v_lshrrev_b32_e32 v69, 16, v26
	v_lshrrev_b32_e32 v35, 16, v0
	s_movk_i32 s4, 0x3aee
	s_mov_b32 s5, 0xbaee
	v_lshrrev_b32_e32 v37, 16, v1
	s_waitcnt lgkmcnt(0)
	v_lshrrev_b32_e32 v70, 16, v28
	v_lshrrev_b32_e32 v71, 16, v27
	;; [unrolled: 1-line block ×7, first 2 shown]
	s_waitcnt vmcnt(0)
	s_barrier
	v_add_lshl_u32 v167, v23, v30, 2
	v_add_lshl_u32 v163, v23, v31, 2
	v_lshlrev_b64 v[4:5], 4, v[4:5]
	v_lshlrev_b64 v[8:9], 4, v[8:9]
	v_add_co_u32_e32 v4, vcc, s14, v4
	s_mov_b32 s16, 0xb8b4
	v_mul_f16_sdwa v73, v36, v15 dst_sel:DWORD dst_unused:UNUSED_PAD src0_sel:DWORD src1_sel:WORD_1
	v_mul_f16_sdwa v74, v3, v15 dst_sel:DWORD dst_unused:UNUSED_PAD src0_sel:DWORD src1_sel:WORD_1
	;; [unrolled: 1-line block ×4, first 2 shown]
	v_fma_f16 v3, v3, v15, -v73
	v_fma_f16 v36, v36, v15, v74
	v_fma_f16 v24, v24, v16, -v75
	v_mul_f16_sdwa v74, v7, v21 dst_sel:DWORD dst_unused:UNUSED_PAD src0_sel:DWORD src1_sel:WORD_1
	v_fma_f16 v67, v67, v16, v76
	v_mul_f16_sdwa v73, v62, v21 dst_sel:DWORD dst_unused:UNUSED_PAD src0_sel:DWORD src1_sel:WORD_1
	v_fma_f16 v62, v62, v21, v74
	v_add_f16_e32 v74, v3, v24
	v_mul_f16_sdwa v77, v38, v15 dst_sel:DWORD dst_unused:UNUSED_PAD src0_sel:DWORD src1_sel:WORD_1
	v_mul_f16_sdwa v79, v68, v16 dst_sel:DWORD dst_unused:UNUSED_PAD src0_sel:DWORD src1_sel:WORD_1
	;; [unrolled: 1-line block ×3, first 2 shown]
	v_fma_f16 v7, v7, v21, -v73
	v_add_f16_e32 v73, v0, v3
	v_fma_f16 v0, v74, -0.5, v0
	v_sub_f16_e32 v74, v36, v67
	v_mul_f16_sdwa v78, v6, v15 dst_sel:DWORD dst_unused:UNUSED_PAD src0_sel:DWORD src1_sel:WORD_1
	v_mul_f16_sdwa v80, v25, v16 dst_sel:DWORD dst_unused:UNUSED_PAD src0_sel:DWORD src1_sel:WORD_1
	v_fma_f16 v6, v6, v15, -v77
	v_fma_f16 v25, v25, v16, -v79
	v_mul_f16_sdwa v76, v26, v22 dst_sel:DWORD dst_unused:UNUSED_PAD src0_sel:DWORD src1_sel:WORD_1
	v_fma_f16 v26, v26, v22, -v75
	v_fma_f16 v75, v74, s4, v0
	v_fma_f16 v0, v74, s5, v0
	v_add_f16_e32 v74, v35, v36
	v_add_f16_e32 v36, v36, v67
	v_fma_f16 v38, v38, v15, v78
	v_fma_f16 v68, v68, v16, v80
	v_fma_f16 v35, v36, -0.5, v35
	v_sub_f16_e32 v3, v3, v24
	v_add_f16_e32 v36, v6, v25
	v_add_f16_e32 v73, v73, v24
	v_fma_f16 v24, v3, s5, v35
	v_fma_f16 v3, v3, s4, v35
	v_add_f16_e32 v35, v1, v6
	v_fma_f16 v1, v36, -0.5, v1
	v_sub_f16_e32 v36, v38, v68
	v_add_f16_e32 v74, v74, v67
	v_fma_f16 v67, v36, s4, v1
	v_fma_f16 v1, v36, s5, v1
	v_add_f16_e32 v36, v37, v38
	v_add_f16_e32 v38, v38, v68
	v_fma_f16 v69, v69, v22, v76
	v_fma_f16 v37, v38, -0.5, v37
	v_sub_f16_e32 v6, v6, v25
	v_add_f16_e32 v38, v7, v26
	v_mul_f16_sdwa v77, v70, v19 dst_sel:DWORD dst_unused:UNUSED_PAD src0_sel:DWORD src1_sel:WORD_1
	v_mul_f16_sdwa v79, v71, v20 dst_sel:DWORD dst_unused:UNUSED_PAD src0_sel:DWORD src1_sel:WORD_1
	v_add_f16_e32 v35, v35, v25
	v_fma_f16 v25, v6, s5, v37
	v_fma_f16 v6, v6, s4, v37
	v_add_f16_e32 v37, v10, v7
	v_fma_f16 v10, v38, -0.5, v10
	v_sub_f16_e32 v38, v62, v69
	v_mul_f16_sdwa v78, v28, v19 dst_sel:DWORD dst_unused:UNUSED_PAD src0_sel:DWORD src1_sel:WORD_1
	v_mul_f16_sdwa v80, v27, v20 dst_sel:DWORD dst_unused:UNUSED_PAD src0_sel:DWORD src1_sel:WORD_1
	v_fma_f16 v28, v28, v19, -v77
	v_fma_f16 v27, v27, v20, -v79
	v_add_f16_e32 v36, v36, v68
	v_fma_f16 v68, v38, s4, v10
	v_fma_f16 v10, v38, s5, v10
	v_add_f16_e32 v38, v42, v62
	v_add_f16_e32 v62, v62, v69
	v_fma_f16 v70, v70, v19, v78
	v_fma_f16 v71, v71, v20, v80
	v_fma_f16 v42, v62, -0.5, v42
	v_sub_f16_e32 v7, v7, v26
	v_add_f16_e32 v62, v28, v27
	v_add_f16_e32 v37, v37, v26
	v_fma_f16 v26, v7, s5, v42
	v_fma_f16 v7, v7, s4, v42
	v_add_f16_e32 v42, v11, v28
	v_fma_f16 v11, v62, -0.5, v11
	v_sub_f16_e32 v62, v70, v71
	v_add_f16_e32 v38, v38, v69
	v_fma_f16 v69, v62, s4, v11
	v_fma_f16 v11, v62, s5, v11
	v_add_f16_e32 v62, v63, v70
	v_mul_f16_sdwa v81, v72, v17 dst_sel:DWORD dst_unused:UNUSED_PAD src0_sel:DWORD src1_sel:WORD_1
	v_add_f16_e32 v76, v62, v71
	v_add_f16_e32 v62, v70, v71
	v_mul_f16_sdwa v82, v29, v17 dst_sel:DWORD dst_unused:UNUSED_PAD src0_sel:DWORD src1_sel:WORD_1
	v_mul_f16_sdwa v83, v66, v18 dst_sel:DWORD dst_unused:UNUSED_PAD src0_sel:DWORD src1_sel:WORD_1
	v_fma_f16 v29, v29, v17, -v81
	v_add_f16_e32 v42, v42, v27
	v_fma_f16 v62, v62, -0.5, v63
	v_sub_f16_e32 v27, v28, v27
	v_mul_f16_sdwa v84, v34, v18 dst_sel:DWORD dst_unused:UNUSED_PAD src0_sel:DWORD src1_sel:WORD_1
	v_fma_f16 v34, v34, v18, -v83
	v_fma_f16 v28, v27, s5, v62
	v_fma_f16 v27, v27, s4, v62
	v_add_f16_e32 v62, v2, v29
	v_fma_f16 v72, v72, v17, v82
	v_fma_f16 v66, v66, v18, v84
	v_add_f16_e32 v70, v62, v34
	v_add_f16_e32 v62, v29, v34
	v_fma_f16 v2, v62, -0.5, v2
	v_sub_f16_e32 v62, v72, v66
	v_fma_f16 v71, v62, s4, v2
	v_fma_f16 v2, v62, s5, v2
	v_add_f16_e32 v62, v64, v72
	v_add_f16_e32 v77, v62, v66
	;; [unrolled: 1-line block ×3, first 2 shown]
	v_pack_b32_f16 v0, v0, v3
	v_pack_b32_f16 v3, v35, v36
	v_fma_f16 v62, v62, -0.5, v64
	v_sub_f16_e32 v29, v29, v34
	ds_write2_b32 v45, v0, v3 offset0:68 offset1:102
	v_pack_b32_f16 v0, v67, v25
	v_pack_b32_f16 v1, v1, v6
	v_fma_f16 v34, v29, s5, v62
	v_fma_f16 v29, v29, s4, v62
	v_pack_b32_f16 v62, v73, v74
	v_pack_b32_f16 v24, v75, v24
	ds_write2_b32 v45, v0, v1 offset0:136 offset1:170
	v_pack_b32_f16 v0, v37, v38
	v_pack_b32_f16 v1, v68, v26
	ds_write2_b32 v45, v62, v24 offset1:34
	ds_write2_b32 v167, v0, v1 offset0:204 offset1:238
	v_pack_b32_f16 v0, v10, v7
	ds_write_b32 v167, v0 offset:1088
	v_pack_b32_f16 v0, v42, v76
	v_pack_b32_f16 v1, v69, v28
	v_add_u32_e32 v3, 0x400, v163
	ds_write2_b32 v3, v0, v1 offset0:50 offset1:84
	v_pack_b32_f16 v0, v11, v27
	v_add_lshl_u32 v64, v23, v32, 2
	ds_write_b32 v163, v0 offset:1496
	v_pack_b32_f16 v0, v70, v77
	v_pack_b32_f16 v1, v71, v34
	v_add_u32_e32 v3, 0x400, v64
	ds_write2_b32 v3, v0, v1 offset0:152 offset1:186
	v_pack_b32_f16 v0, v2, v29
	ds_write_b32 v64, v0 offset:1904
	v_lshlrev_b32_e32 v0, 4, v39
	s_waitcnt lgkmcnt(0)
	s_barrier
	global_load_dwordx4 v[0:3], v0, s[14:15] offset:340
	v_mov_b32_e32 v10, s15
	v_addc_co_u32_e32 v5, vcc, v10, v5, vcc
	global_load_dwordx4 v[4:7], v[4:5], off offset:340
	v_add_co_u32_e32 v8, vcc, s14, v8
	v_addc_co_u32_e32 v9, vcc, v10, v9, vcc
	global_load_dwordx4 v[8:11], v[8:9], off offset:340
	ds_read2_b32 v[29:30], v45 offset1:34
	ds_read2_b32 v[34:35], v45 offset0:68 offset1:102
	ds_read2_b32 v[23:24], v45 offset0:204 offset1:238
	;; [unrolled: 1-line block ×5, first 2 shown]
	s_waitcnt lgkmcnt(4)
	v_lshrrev_b32_e32 v42, 16, v35
	s_waitcnt lgkmcnt(3)
	v_lshrrev_b32_e32 v66, 16, v23
	;; [unrolled: 2-line block ×3, first 2 shown]
	ds_read2_b32 v[36:37], v33 offset0:84 offset1:118
	s_waitcnt lgkmcnt(2)
	v_lshrrev_b32_e32 v33, 16, v27
	s_waitcnt lgkmcnt(1)
	v_lshrrev_b32_e32 v68, 16, v31
	v_lshrrev_b32_e32 v69, 16, v24
	;; [unrolled: 1-line block ×3, first 2 shown]
	s_waitcnt lgkmcnt(0)
	v_lshrrev_b32_e32 v70, 16, v36
	v_lshrrev_b32_e32 v73, 16, v32
	ds_read_b32 v72, v45 offset:1904
	v_lshrrev_b32_e32 v74, 16, v25
	v_lshrrev_b32_e32 v76, 16, v37
	s_movk_i32 s4, 0x3b9c
	s_mov_b32 s15, 0xbb9c
	s_waitcnt lgkmcnt(0)
	v_lshrrev_b32_e32 v77, 16, v72
	s_movk_i32 s5, 0x38b4
	s_movk_i32 s14, 0x34f2
	v_lshrrev_b32_e32 v38, 16, v29
	v_lshrrev_b32_e32 v75, 16, v30
	v_lshrrev_b32_e32 v80, 16, v34
	s_waitcnt vmcnt(2)
	v_mul_f16_sdwa v78, v42, v0 dst_sel:DWORD dst_unused:UNUSED_PAD src0_sel:DWORD src1_sel:WORD_1
	v_fma_f16 v78, v35, v0, -v78
	v_mul_f16_sdwa v35, v35, v0 dst_sel:DWORD dst_unused:UNUSED_PAD src0_sel:DWORD src1_sel:WORD_1
	v_fma_f16 v35, v42, v0, v35
	v_mul_f16_sdwa v42, v66, v1 dst_sel:DWORD dst_unused:UNUSED_PAD src0_sel:DWORD src1_sel:WORD_1
	v_fma_f16 v42, v23, v1, -v42
	v_mul_f16_sdwa v23, v23, v1 dst_sel:DWORD dst_unused:UNUSED_PAD src0_sel:DWORD src1_sel:WORD_1
	v_fma_f16 v79, v66, v1, v23
	v_mul_f16_sdwa v23, v67, v2 dst_sel:DWORD dst_unused:UNUSED_PAD src0_sel:DWORD src1_sel:WORD_1
	v_fma_f16 v81, v26, v2, -v23
	v_mul_f16_sdwa v23, v26, v2 dst_sel:DWORD dst_unused:UNUSED_PAD src0_sel:DWORD src1_sel:WORD_1
	v_fma_f16 v82, v67, v2, v23
	v_mul_f16_sdwa v23, v33, v3 dst_sel:DWORD dst_unused:UNUSED_PAD src0_sel:DWORD src1_sel:WORD_1
	v_fma_f16 v83, v27, v3, -v23
	v_mul_f16_sdwa v23, v27, v3 dst_sel:DWORD dst_unused:UNUSED_PAD src0_sel:DWORD src1_sel:WORD_1
	v_fma_f16 v27, v33, v3, v23
	s_waitcnt vmcnt(1)
	v_mul_f16_sdwa v23, v68, v4 dst_sel:DWORD dst_unused:UNUSED_PAD src0_sel:DWORD src1_sel:WORD_1
	v_fma_f16 v33, v31, v4, -v23
	v_mul_f16_sdwa v23, v31, v4 dst_sel:DWORD dst_unused:UNUSED_PAD src0_sel:DWORD src1_sel:WORD_1
	v_fma_f16 v84, v68, v4, v23
	v_mul_f16_sdwa v23, v69, v5 dst_sel:DWORD dst_unused:UNUSED_PAD src0_sel:DWORD src1_sel:WORD_1
	v_fma_f16 v85, v24, v5, -v23
	v_mul_f16_sdwa v23, v24, v5 dst_sel:DWORD dst_unused:UNUSED_PAD src0_sel:DWORD src1_sel:WORD_1
	v_fma_f16 v86, v69, v5, v23
	v_mul_f16_sdwa v23, v70, v6 dst_sel:DWORD dst_unused:UNUSED_PAD src0_sel:DWORD src1_sel:WORD_1
	v_fma_f16 v87, v36, v6, -v23
	v_mul_f16_sdwa v23, v36, v6 dst_sel:DWORD dst_unused:UNUSED_PAD src0_sel:DWORD src1_sel:WORD_1
	v_fma_f16 v36, v70, v6, v23
	v_mul_f16_sdwa v23, v71, v7 dst_sel:DWORD dst_unused:UNUSED_PAD src0_sel:DWORD src1_sel:WORD_1
	v_fma_f16 v88, v28, v7, -v23
	v_mul_f16_sdwa v23, v28, v7 dst_sel:DWORD dst_unused:UNUSED_PAD src0_sel:DWORD src1_sel:WORD_1
	v_fma_f16 v89, v71, v7, v23
	;; [unrolled: 17-line block ×3, first 2 shown]
	v_add_f16_e32 v23, v29, v78
	v_add_f16_e32 v23, v23, v42
	;; [unrolled: 1-line block ×5, first 2 shown]
	v_fma_f16 v24, v23, -0.5, v29
	v_sub_f16_e32 v25, v35, v27
	v_fma_f16 v23, v25, s4, v24
	v_sub_f16_e32 v28, v79, v82
	v_sub_f16_e32 v26, v78, v42
	;; [unrolled: 1-line block ×3, first 2 shown]
	v_fma_f16 v24, v25, s15, v24
	v_fma_f16 v23, v28, s5, v23
	v_add_f16_e32 v26, v26, v31
	v_fma_f16 v24, v28, s16, v24
	v_fma_f16 v23, v26, s14, v23
	;; [unrolled: 1-line block ×3, first 2 shown]
	v_add_f16_e32 v24, v78, v83
	v_fma_f16 v29, v24, -0.5, v29
	v_fma_f16 v24, v28, s15, v29
	v_fma_f16 v28, v28, s4, v29
	;; [unrolled: 1-line block ×4, first 2 shown]
	v_add_f16_e32 v28, v38, v35
	v_add_f16_e32 v28, v28, v79
	;; [unrolled: 1-line block ×3, first 2 shown]
	v_sub_f16_e32 v31, v42, v78
	v_sub_f16_e32 v32, v81, v83
	v_add_f16_e32 v67, v28, v27
	v_add_f16_e32 v28, v79, v82
	;; [unrolled: 1-line block ×3, first 2 shown]
	v_fma_f16 v28, v28, -0.5, v38
	v_sub_f16_e32 v29, v78, v83
	v_fma_f16 v24, v31, s14, v24
	v_fma_f16 v25, v31, s14, v25
	;; [unrolled: 1-line block ×3, first 2 shown]
	v_sub_f16_e32 v32, v42, v81
	v_sub_f16_e32 v42, v35, v79
	;; [unrolled: 1-line block ×3, first 2 shown]
	v_fma_f16 v28, v29, s4, v28
	v_add_f16_e32 v42, v42, v68
	v_fma_f16 v28, v32, s5, v28
	v_fma_f16 v69, v42, s14, v28
	v_add_f16_e32 v28, v35, v27
	v_fma_f16 v31, v32, s16, v31
	v_fma_f16 v28, v28, -0.5, v38
	v_fma_f16 v68, v42, s14, v31
	v_fma_f16 v31, v32, s4, v28
	v_sub_f16_e32 v35, v79, v35
	v_sub_f16_e32 v27, v82, v27
	v_fma_f16 v28, v32, s15, v28
	v_add_f16_e32 v27, v35, v27
	v_fma_f16 v28, v29, s5, v28
	v_fma_f16 v71, v27, s14, v28
	v_add_f16_e32 v28, v85, v87
	v_fma_f16 v31, v29, s16, v31
	v_fma_f16 v29, v28, -0.5, v30
	v_sub_f16_e32 v32, v84, v89
	v_fma_f16 v70, v27, s14, v31
	v_fma_f16 v28, v32, s4, v29
	v_sub_f16_e32 v35, v86, v36
	v_sub_f16_e32 v31, v33, v85
	;; [unrolled: 1-line block ×3, first 2 shown]
	v_fma_f16 v29, v32, s15, v29
	v_fma_f16 v28, v35, s5, v28
	v_add_f16_e32 v31, v31, v38
	v_fma_f16 v29, v35, s16, v29
	v_fma_f16 v28, v31, s14, v28
	;; [unrolled: 1-line block ×3, first 2 shown]
	v_add_f16_e32 v31, v33, v88
	v_add_f16_e32 v27, v30, v33
	v_fma_f16 v30, v31, -0.5, v30
	v_fma_f16 v31, v35, s15, v30
	v_sub_f16_e32 v38, v85, v33
	v_sub_f16_e32 v42, v87, v88
	v_fma_f16 v30, v35, s4, v30
	v_add_f16_e32 v38, v38, v42
	v_fma_f16 v30, v32, s16, v30
	v_fma_f16 v31, v32, s5, v31
	;; [unrolled: 1-line block ×3, first 2 shown]
	v_add_f16_e32 v30, v75, v84
	v_add_f16_e32 v30, v30, v86
	;; [unrolled: 1-line block ×5, first 2 shown]
	v_fma_f16 v30, v30, -0.5, v75
	v_sub_f16_e32 v33, v33, v88
	v_fma_f16 v31, v38, s14, v31
	v_fma_f16 v35, v33, s15, v30
	v_sub_f16_e32 v38, v85, v87
	v_sub_f16_e32 v42, v84, v86
	;; [unrolled: 1-line block ×3, first 2 shown]
	v_fma_f16 v30, v33, s4, v30
	v_add_f16_e32 v42, v42, v73
	v_fma_f16 v30, v38, s5, v30
	v_fma_f16 v74, v42, s14, v30
	v_add_f16_e32 v30, v84, v89
	v_fma_f16 v35, v38, s16, v35
	v_fma_f16 v30, v30, -0.5, v75
	v_fma_f16 v73, v42, s14, v35
	v_fma_f16 v35, v38, s4, v30
	v_sub_f16_e32 v42, v86, v84
	v_sub_f16_e32 v36, v36, v89
	v_fma_f16 v30, v38, s15, v30
	v_fma_f16 v35, v33, s16, v35
	v_add_f16_e32 v36, v42, v36
	v_fma_f16 v30, v33, s5, v30
	v_add_f16_e32 v33, v92, v94
	v_fma_f16 v75, v36, s14, v35
	v_fma_f16 v35, v33, -0.5, v34
	v_sub_f16_e32 v38, v91, v96
	v_fma_f16 v76, v36, s14, v30
	v_fma_f16 v33, v38, s4, v35
	v_sub_f16_e32 v42, v93, v37
	v_sub_f16_e32 v36, v90, v92
	;; [unrolled: 1-line block ×3, first 2 shown]
	v_fma_f16 v35, v38, s15, v35
	v_fma_f16 v33, v42, s5, v33
	v_add_f16_e32 v36, v36, v77
	v_fma_f16 v35, v42, s16, v35
	v_fma_f16 v33, v36, s14, v33
	v_fma_f16 v36, v36, s14, v35
	v_add_f16_e32 v35, v90, v95
	v_fma_f16 v35, v35, -0.5, v34
	v_add_f16_e32 v30, v34, v90
	v_fma_f16 v34, v42, s15, v35
	v_fma_f16 v35, v42, s4, v35
	;; [unrolled: 1-line block ×4, first 2 shown]
	v_add_f16_e32 v38, v80, v91
	v_sub_f16_e32 v77, v92, v90
	v_sub_f16_e32 v78, v94, v95
	v_add_f16_e32 v38, v38, v93
	v_add_f16_e32 v77, v77, v78
	v_add_f16_e32 v38, v38, v37
	v_fma_f16 v34, v77, s14, v34
	v_fma_f16 v35, v77, s14, v35
	v_add_f16_e32 v77, v38, v96
	v_add_f16_e32 v38, v93, v37
	v_fma_f16 v38, v38, -0.5, v80
	v_sub_f16_e32 v42, v90, v95
	v_fma_f16 v78, v42, s15, v38
	v_sub_f16_e32 v81, v92, v94
	v_sub_f16_e32 v79, v91, v93
	v_sub_f16_e32 v82, v96, v37
	v_fma_f16 v38, v42, s4, v38
	v_fma_f16 v78, v81, s16, v78
	v_add_f16_e32 v79, v79, v82
	v_fma_f16 v38, v81, s5, v38
	v_fma_f16 v78, v79, s14, v78
	;; [unrolled: 1-line block ×3, first 2 shown]
	v_add_f16_e32 v38, v91, v96
	v_fma_f16 v38, v38, -0.5, v80
	v_fma_f16 v80, v81, s4, v38
	v_sub_f16_e32 v82, v93, v91
	v_sub_f16_e32 v37, v37, v96
	v_fma_f16 v38, v81, s15, v38
	v_fma_f16 v80, v42, s16, v80
	v_add_f16_e32 v37, v82, v37
	v_fma_f16 v38, v42, s5, v38
	v_add_f16_e32 v27, v27, v85
	v_add_f16_e32 v30, v30, v92
	v_fma_f16 v80, v37, s14, v80
	v_fma_f16 v81, v37, s14, v38
	v_lshl_add_u32 v42, v39, 2, v174
	v_pack_b32_f16 v37, v66, v67
	v_add_f16_e32 v27, v27, v87
	v_add_f16_e32 v30, v30, v94
	ds_write_b32 v42, v37
	v_pack_b32_f16 v37, v23, v68
	v_pack_b32_f16 v85, v28, v73
	v_add_f16_e32 v27, v27, v88
	v_add_f16_e32 v30, v30, v95
	v_pack_b32_f16 v82, v25, v71
	ds_write2_b32 v42, v37, v85 offset0:102 offset1:136
	v_pack_b32_f16 v86, v32, v76
	v_add_u32_e32 v37, 0x400, v42
	v_pack_b32_f16 v84, v27, v72
	ds_write2_b32 v37, v82, v86 offset0:50 offset1:84
	v_pack_b32_f16 v86, v30, v77
	v_pack_b32_f16 v38, v24, v70
	ds_write2_b32 v42, v84, v86 offset0:34 offset1:68
	v_pack_b32_f16 v84, v33, v78
	;; [unrolled: 3-line block ×3, first 2 shown]
	v_add_u32_e32 v84, 0x200, v42
	v_pack_b32_f16 v83, v26, v69
	ds_write2_b32 v84, v85, v38 offset0:110 offset1:144
	v_pack_b32_f16 v38, v35, v81
	v_pack_b32_f16 v82, v29, v74
	ds_write2_b32 v37, v38, v83 offset0:118 offset1:152
	v_pack_b32_f16 v38, v36, v79
	ds_write2_b32 v37, v82, v38 offset0:186 offset1:220
	s_waitcnt lgkmcnt(0)
	s_barrier
	s_and_saveexec_b64 s[4:5], s[0:1]
	s_cbranch_execz .LBB0_13
; %bb.12:
	global_load_dword v38, v40, s[6:7] offset:2040
	s_add_u32 s14, s6, 0x7f8
	s_addc_u32 s15, s7, 0
	global_load_dword v94, v40, s[14:15] offset:120
	global_load_dword v95, v40, s[14:15] offset:240
	;; [unrolled: 1-line block ×10, first 2 shown]
	ds_read_b32 v82, v42
	global_load_dword v104, v40, s[14:15] offset:1320
	global_load_dword v105, v40, s[14:15] offset:1440
	;; [unrolled: 1-line block ×6, first 2 shown]
	s_waitcnt lgkmcnt(0)
	v_lshrrev_b32_e32 v83, 16, v82
	s_waitcnt vmcnt(16)
	v_mul_f16_sdwa v84, v83, v38 dst_sel:DWORD dst_unused:UNUSED_PAD src0_sel:DWORD src1_sel:WORD_1
	v_mul_f16_sdwa v85, v82, v38 dst_sel:DWORD dst_unused:UNUSED_PAD src0_sel:DWORD src1_sel:WORD_1
	v_fma_f16 v82, v82, v38, -v84
	v_fma_f16 v38, v83, v38, v85
	v_pack_b32_f16 v38, v82, v38
	ds_write_b32 v42, v38
	ds_read2_b32 v[82:83], v42 offset0:30 offset1:60
	ds_read2_b32 v[84:85], v42 offset0:90 offset1:120
	;; [unrolled: 1-line block ×6, first 2 shown]
	s_waitcnt lgkmcnt(5)
	v_lshrrev_b32_e32 v38, 16, v82
	s_waitcnt vmcnt(15)
	v_mul_f16_sdwa v110, v82, v94 dst_sel:DWORD dst_unused:UNUSED_PAD src0_sel:DWORD src1_sel:WORD_1
	v_lshrrev_b32_e32 v111, 16, v83
	s_waitcnt vmcnt(14)
	v_mul_f16_sdwa v112, v83, v95 dst_sel:DWORD dst_unused:UNUSED_PAD src0_sel:DWORD src1_sel:WORD_1
	s_waitcnt lgkmcnt(4)
	v_lshrrev_b32_e32 v113, 16, v84
	s_waitcnt vmcnt(13)
	v_mul_f16_sdwa v114, v84, v96 dst_sel:DWORD dst_unused:UNUSED_PAD src0_sel:DWORD src1_sel:WORD_1
	v_lshrrev_b32_e32 v115, 16, v85
	s_waitcnt vmcnt(12)
	v_mul_f16_sdwa v116, v85, v97 dst_sel:DWORD dst_unused:UNUSED_PAD src0_sel:DWORD src1_sel:WORD_1
	;; [unrolled: 7-line block ×3, first 2 shown]
	s_waitcnt lgkmcnt(2)
	v_lshrrev_b32_e32 v121, 16, v88
	s_waitcnt vmcnt(9)
	v_mul_f16_sdwa v122, v88, v100 dst_sel:DWORD dst_unused:UNUSED_PAD src0_sel:DWORD src1_sel:WORD_1
	v_lshrrev_b32_e32 v123, 16, v89
	v_mul_f16_sdwa v128, v38, v94 dst_sel:DWORD dst_unused:UNUSED_PAD src0_sel:DWORD src1_sel:WORD_1
	v_fma_f16 v38, v38, v94, v110
	v_mul_f16_sdwa v110, v111, v95 dst_sel:DWORD dst_unused:UNUSED_PAD src0_sel:DWORD src1_sel:WORD_1
	s_waitcnt vmcnt(8)
	v_mul_f16_sdwa v124, v89, v101 dst_sel:DWORD dst_unused:UNUSED_PAD src0_sel:DWORD src1_sel:WORD_1
	v_fma_f16 v111, v111, v95, v112
	v_mul_f16_sdwa v112, v113, v96 dst_sel:DWORD dst_unused:UNUSED_PAD src0_sel:DWORD src1_sel:WORD_1
	v_fma_f16 v113, v113, v96, v114
	;; [unrolled: 2-line block ×6, first 2 shown]
	v_mul_f16_sdwa v122, v123, v101 dst_sel:DWORD dst_unused:UNUSED_PAD src0_sel:DWORD src1_sel:WORD_1
	v_fma_f16 v82, v82, v94, -v128
	v_fma_f16 v83, v83, v95, -v110
	s_waitcnt lgkmcnt(1)
	v_lshrrev_b32_e32 v125, 16, v90
	s_waitcnt vmcnt(7)
	v_mul_f16_sdwa v126, v90, v102 dst_sel:DWORD dst_unused:UNUSED_PAD src0_sel:DWORD src1_sel:WORD_1
	v_lshrrev_b32_e32 v127, 16, v91
	v_fma_f16 v123, v123, v101, v124
	v_fma_f16 v84, v84, v96, -v112
	v_fma_f16 v85, v85, v97, -v114
	;; [unrolled: 1-line block ×6, first 2 shown]
	v_pack_b32_f16 v38, v82, v38
	v_pack_b32_f16 v82, v83, v111
	v_mul_f16_sdwa v124, v125, v102 dst_sel:DWORD dst_unused:UNUSED_PAD src0_sel:DWORD src1_sel:WORD_1
	v_fma_f16 v125, v125, v102, v126
	s_waitcnt vmcnt(6)
	v_mul_f16_sdwa v126, v127, v103 dst_sel:DWORD dst_unused:UNUSED_PAD src0_sel:DWORD src1_sel:WORD_1
	v_pack_b32_f16 v83, v84, v113
	v_pack_b32_f16 v84, v85, v115
	;; [unrolled: 1-line block ×6, first 2 shown]
	ds_write2_b32 v42, v38, v82 offset0:30 offset1:60
	ds_write2_b32 v42, v83, v84 offset0:90 offset1:120
	;; [unrolled: 1-line block ×4, first 2 shown]
	v_mul_f16_sdwa v38, v91, v103 dst_sel:DWORD dst_unused:UNUSED_PAD src0_sel:DWORD src1_sel:WORD_1
	v_fma_f16 v90, v90, v102, -v124
	v_fma_f16 v94, v91, v103, -v126
	v_fma_f16 v38, v127, v103, v38
	v_pack_b32_f16 v89, v90, v125
	v_pack_b32_f16 v38, v94, v38
	ds_write2_b32 v37, v89, v38 offset0:14 offset1:44
	s_waitcnt lgkmcnt(5)
	v_lshrrev_b32_e32 v38, 16, v92
	s_waitcnt vmcnt(5)
	v_mul_f16_sdwa v82, v38, v104 dst_sel:DWORD dst_unused:UNUSED_PAD src0_sel:DWORD src1_sel:WORD_1
	v_mul_f16_sdwa v83, v92, v104 dst_sel:DWORD dst_unused:UNUSED_PAD src0_sel:DWORD src1_sel:WORD_1
	v_fma_f16 v82, v92, v104, -v82
	v_fma_f16 v38, v38, v104, v83
	v_lshrrev_b32_e32 v84, 16, v93
	v_pack_b32_f16 v38, v82, v38
	s_waitcnt vmcnt(4)
	v_mul_f16_sdwa v82, v84, v105 dst_sel:DWORD dst_unused:UNUSED_PAD src0_sel:DWORD src1_sel:WORD_1
	v_fma_f16 v85, v93, v105, -v82
	ds_read2_b32 v[82:83], v37 offset0:134 offset1:164
	v_mul_f16_sdwa v86, v93, v105 dst_sel:DWORD dst_unused:UNUSED_PAD src0_sel:DWORD src1_sel:WORD_1
	v_fma_f16 v84, v84, v105, v86
	v_pack_b32_f16 v84, v85, v84
	ds_write2_b32 v37, v38, v84 offset0:74 offset1:104
	s_waitcnt lgkmcnt(1)
	v_lshrrev_b32_e32 v38, 16, v82
	s_waitcnt vmcnt(3)
	v_mul_f16_sdwa v84, v38, v106 dst_sel:DWORD dst_unused:UNUSED_PAD src0_sel:DWORD src1_sel:WORD_1
	v_fma_f16 v84, v82, v106, -v84
	v_mul_f16_sdwa v82, v82, v106 dst_sel:DWORD dst_unused:UNUSED_PAD src0_sel:DWORD src1_sel:WORD_1
	v_fma_f16 v38, v38, v106, v82
	v_lshrrev_b32_e32 v82, 16, v83
	v_pack_b32_f16 v38, v84, v38
	s_waitcnt vmcnt(2)
	v_mul_f16_sdwa v84, v82, v107 dst_sel:DWORD dst_unused:UNUSED_PAD src0_sel:DWORD src1_sel:WORD_1
	v_fma_f16 v86, v83, v107, -v84
	ds_read2_b32 v[84:85], v37 offset0:194 offset1:224
	v_mul_f16_sdwa v83, v83, v107 dst_sel:DWORD dst_unused:UNUSED_PAD src0_sel:DWORD src1_sel:WORD_1
	v_fma_f16 v82, v82, v107, v83
	v_pack_b32_f16 v82, v86, v82
	ds_write2_b32 v37, v38, v82 offset0:134 offset1:164
	s_waitcnt lgkmcnt(1)
	v_lshrrev_b32_e32 v38, 16, v84
	s_waitcnt vmcnt(1)
	v_mul_f16_sdwa v82, v38, v108 dst_sel:DWORD dst_unused:UNUSED_PAD src0_sel:DWORD src1_sel:WORD_1
	v_mul_f16_sdwa v83, v84, v108 dst_sel:DWORD dst_unused:UNUSED_PAD src0_sel:DWORD src1_sel:WORD_1
	v_fma_f16 v82, v84, v108, -v82
	v_fma_f16 v38, v38, v108, v83
	v_pack_b32_f16 v38, v82, v38
	v_lshrrev_b32_e32 v82, 16, v85
	s_waitcnt vmcnt(0)
	v_mul_f16_sdwa v83, v82, v109 dst_sel:DWORD dst_unused:UNUSED_PAD src0_sel:DWORD src1_sel:WORD_1
	v_mul_f16_sdwa v84, v85, v109 dst_sel:DWORD dst_unused:UNUSED_PAD src0_sel:DWORD src1_sel:WORD_1
	v_fma_f16 v83, v85, v109, -v83
	v_fma_f16 v82, v82, v109, v84
	v_pack_b32_f16 v82, v83, v82
	ds_write2_b32 v37, v38, v82 offset0:194 offset1:224
.LBB0_13:
	s_or_b64 exec, exec, s[4:5]
	s_waitcnt lgkmcnt(0)
	s_barrier
	s_and_saveexec_b64 s[4:5], s[0:1]
	s_cbranch_execz .LBB0_15
; %bb.14:
	v_add_u32_e32 v13, 0x400, v42
	ds_read_b32 v66, v42
	ds_read2_b32 v[23:24], v42 offset0:30 offset1:60
	ds_read2_b32 v[25:26], v42 offset0:90 offset1:120
	;; [unrolled: 1-line block ×8, first 2 shown]
	s_waitcnt lgkmcnt(8)
	v_lshrrev_b32_e32 v67, 16, v66
	s_waitcnt lgkmcnt(7)
	v_lshrrev_b32_e32 v68, 16, v23
	v_lshrrev_b32_e32 v70, 16, v24
	s_waitcnt lgkmcnt(6)
	v_lshrrev_b32_e32 v71, 16, v25
	;; [unrolled: 3-line block ×8, first 2 shown]
	v_lshrrev_b32_e32 v44, 16, v14
.LBB0_15:
	s_or_b64 exec, exec, s[4:5]
	v_sub_f16_e32 v93, v68, v44
	v_add_f16_e32 v84, v14, v23
	v_add_f16_e32 v97, v44, v68
	s_movk_i32 s14, 0x39e9
	v_mul_f16_e32 v103, 0xb964, v93
	v_sub_f16_e32 v96, v70, v65
	v_sub_f16_e32 v85, v23, v14
	s_mov_b32 s17, 0xb964
	v_mul_f16_e32 v107, 0x39e9, v97
	v_fma_f16 v37, v84, s14, -v103
	v_add_f16_e32 v86, v13, v24
	v_add_f16_e32 v101, v65, v70
	s_movk_i32 s16, 0x2de8
	v_mul_f16_e32 v109, 0xbbf7, v96
	v_add_f16_e32 v37, v66, v37
	v_fma_f16 v38, v85, s17, v107
	s_movk_i32 s15, 0x3722
	v_mul_f16_e32 v115, 0xbb29, v93
	v_sub_f16_e32 v87, v24, v13
	s_mov_b32 s20, 0xbbf7
	v_mul_f16_e32 v113, 0x2de8, v101
	v_fma_f16 v88, v86, s16, -v109
	v_add_f16_e32 v38, v67, v38
	s_mov_b32 s19, 0xbb29
	v_mul_f16_e32 v120, 0x3722, v97
	v_fma_f16 v82, v84, s15, -v115
	v_add_f16_e32 v37, v88, v37
	v_fma_f16 v88, v87, s20, v113
	s_mov_b32 s18, 0xb8d2
	v_mul_f16_e32 v121, 0xba62, v96
	v_add_f16_e32 v82, v66, v82
	v_fma_f16 v83, v85, s19, v120
	v_add_f16_e32 v38, v88, v38
	s_mov_b32 s22, 0xba62
	v_mul_f16_e32 v128, 0xb8d2, v101
	v_fma_f16 v88, v86, s18, -v121
	v_add_f16_e32 v83, v67, v83
	v_add_f16_e32 v82, v88, v82
	v_fma_f16 v88, v87, s22, v128
	v_sub_f16_e32 v100, v71, v79
	v_add_f16_e32 v83, v88, v83
	v_add_f16_e32 v88, v36, v25
	;; [unrolled: 1-line block ×3, first 2 shown]
	v_mul_f16_e32 v112, 0xba62, v100
	v_sub_f16_e32 v90, v25, v36
	v_mul_f16_e32 v117, 0xb8d2, v106
	v_fma_f16 v89, v88, s18, -v112
	v_add_f16_e32 v37, v89, v37
	v_fma_f16 v89, v90, s22, v117
	v_mul_f16_e32 v127, 0x31e1, v100
	v_add_f16_e32 v38, v89, v38
	s_movk_i32 s28, 0x31e1
	v_mul_f16_e32 v134, 0xbbdd, v106
	v_fma_f16 v89, v88, s21, -v127
	v_add_f16_e32 v82, v89, v82
	v_fma_f16 v89, v90, s28, v134
	v_sub_f16_e32 v105, v69, v81
	v_add_f16_e32 v83, v89, v83
	v_add_f16_e32 v89, v35, v26
	;; [unrolled: 1-line block ×3, first 2 shown]
	v_mul_f16_e32 v118, 0xb1e1, v105
	v_sub_f16_e32 v92, v26, v35
	s_mov_b32 s24, 0xb1e1
	v_mul_f16_e32 v125, 0xbbdd, v111
	v_fma_f16 v91, v89, s21, -v118
	v_add_f16_e32 v37, v91, v37
	v_fma_f16 v91, v92, s24, v125
	s_mov_b32 s23, 0xb461
	v_mul_f16_e32 v135, 0x3bb2, v105
	v_add_f16_e32 v38, v91, v38
	s_movk_i32 s30, 0x3bb2
	v_mul_f16_e32 v138, 0xb461, v111
	v_fma_f16 v91, v89, s23, -v135
	v_add_f16_e32 v82, v91, v82
	v_fma_f16 v91, v92, s30, v138
	v_sub_f16_e32 v110, v72, v80
	v_add_f16_e32 v83, v91, v83
	v_add_f16_e32 v91, v34, v27
	v_add_f16_e32 v116, v80, v72
	s_mov_b32 s25, 0xbacd
	v_mul_f16_e32 v126, 0x3836, v110
	v_sub_f16_e32 v95, v27, v34
	s_movk_i32 s31, 0x3836
	v_mul_f16_e32 v132, 0xbacd, v116
	v_fma_f16 v94, v91, s25, -v126
	v_add_f16_e32 v37, v94, v37
	v_fma_f16 v94, v95, s31, v132
	v_mul_f16_e32 v139, 0x3964, v110
	v_add_f16_e32 v38, v94, v38
	s_movk_i32 s33, 0x3964
	v_mul_f16_e32 v144, 0x39e9, v116
	v_fma_f16 v94, v91, s14, -v139
	v_add_f16_e32 v82, v94, v82
	v_fma_f16 v94, v95, s33, v144
	v_sub_f16_e32 v114, v73, v78
	v_add_f16_e32 v83, v94, v83
	v_add_f16_e32 v94, v33, v28
	;; [unrolled: 1-line block ×3, first 2 shown]
	v_mul_f16_e32 v130, 0x3bb2, v114
	v_sub_f16_e32 v99, v28, v33
	v_mul_f16_e32 v136, 0xb461, v122
	v_fma_f16 v98, v94, s23, -v130
	v_add_f16_e32 v37, v98, v37
	v_fma_f16 v98, v99, s30, v136
	s_movk_i32 s26, 0x3b76
	v_mul_f16_e32 v143, 0xb5c8, v114
	v_add_f16_e32 v38, v98, v38
	v_mul_f16_e32 v147, 0x3b76, v122
	v_fma_f16 v98, v94, s26, -v143
	v_add_f16_e32 v82, v98, v82
	v_fma_f16 v98, v99, s27, v147
	v_sub_f16_e32 v119, v75, v77
	v_add_f16_e32 v83, v98, v83
	v_add_f16_e32 v98, v30, v31
	;; [unrolled: 1-line block ×3, first 2 shown]
	v_mul_f16_e32 v137, 0x3b29, v119
	v_sub_f16_e32 v104, v31, v30
	s_movk_i32 s34, 0x3b29
	v_mul_f16_e32 v142, 0x3722, v129
	v_fma_f16 v102, v98, s15, -v137
	v_add_f16_e32 v37, v102, v37
	v_fma_f16 v102, v104, s34, v142
	v_mul_f16_e32 v146, 0xbbf7, v119
	v_add_f16_e32 v123, v102, v38
	v_mul_f16_e32 v149, 0x2de8, v129
	v_fma_f16 v38, v98, s16, -v146
	v_sub_f16_e32 v124, v76, v74
	v_add_f16_e32 v131, v38, v82
	v_fma_f16 v38, v104, s20, v149
	v_add_f16_e32 v102, v29, v32
	v_add_f16_e32 v133, v74, v76
	v_mul_f16_e32 v141, 0x35c8, v124
	v_add_f16_e32 v83, v38, v83
	v_sub_f16_e32 v108, v32, v29
	s_movk_i32 s35, 0x35c8
	v_mul_f16_e32 v145, 0x3b76, v133
	v_fma_f16 v38, v102, s26, -v141
	v_add_f16_e32 v38, v38, v37
	v_fma_f16 v37, v108, s35, v145
	s_mov_b32 s29, 0xb836
	v_mul_f16_e32 v148, 0xb836, v124
	v_mul_f16_e32 v150, 0xbacd, v133
	v_add_f16_e32 v82, v37, v123
	v_fma_f16 v37, v102, s25, -v148
	v_fma_f16 v123, v108, s29, v150
	v_add_f16_e32 v37, v37, v131
	v_add_f16_e32 v83, v123, v83
	s_barrier
	s_and_saveexec_b64 s[4:5], s[0:1]
	s_cbranch_execz .LBB0_17
; %bb.16:
	v_mul_f16_e32 v183, 0xbbf7, v85
	v_fma_f16 v123, v97, s16, v183
	v_mul_f16_e32 v184, 0xb1e1, v87
	v_add_f16_e32 v123, v67, v123
	v_fma_f16 v131, v101, s21, v184
	v_mul_f16_e32 v185, 0x3bb2, v90
	v_add_f16_e32 v123, v131, v123
	;; [unrolled: 3-line block ×8, first 2 shown]
	v_fma_f16 v131, v84, s16, -v191
	v_mul_f16_e32 v192, 0xb1e1, v96
	v_add_f16_e32 v131, v66, v131
	v_mov_b32_e32 v63, v140
	v_fma_f16 v140, v86, s21, -v192
	v_mul_f16_e32 v193, 0x3bb2, v100
	v_add_f16_e32 v131, v140, v131
	v_fma_f16 v140, v88, s23, -v193
	v_mul_f16_e32 v194, 0x35c8, v105
	v_add_f16_e32 v131, v140, v131
	;; [unrolled: 3-line block ×6, first 2 shown]
	v_fma_f16 v140, v102, s14, -v198
	v_mul_f16_e32 v199, 0xbbb2, v85
	buffer_store_dword v43, off, s[44:47], 0 ; 4-byte Folded Spill
	v_add_f16_e32 v43, v140, v131
	v_fma_f16 v140, v97, s23, v199
	v_mul_f16_e32 v200, 0x3836, v87
	v_add_f16_e32 v140, v67, v140
	v_fma_f16 v201, v101, s25, v200
	v_add_f16_e32 v140, v201, v140
	v_mul_f16_e32 v201, 0x3964, v90
	v_fma_f16 v202, v106, s14, v201
	v_add_f16_e32 v140, v202, v140
	v_mul_f16_e32 v202, 0xbb29, v92
	;; [unrolled: 3-line block ×6, first 2 shown]
	v_fma_f16 v207, v133, s18, v206
	buffer_store_dword v43, off, s[44:47], 0 offset:4 ; 4-byte Folded Spill
	v_add_f16_e32 v43, v207, v140
	v_mul_f16_e32 v207, 0xbbb2, v93
	v_fma_f16 v208, v84, s23, -v207
	v_mul_f16_e32 v209, 0x3836, v96
	v_add_f16_e32 v208, v66, v208
	v_fma_f16 v210, v86, s25, -v209
	v_add_f16_e32 v208, v210, v208
	v_mul_f16_e32 v210, 0x3964, v100
	v_fma_f16 v211, v88, s14, -v210
	v_add_f16_e32 v208, v211, v208
	v_mul_f16_e32 v211, 0xbb29, v105
	;; [unrolled: 3-line block ×6, first 2 shown]
	v_fma_f16 v216, v102, s18, -v215
	buffer_store_dword v43, off, s[44:47], 0 offset:8 ; 4-byte Folded Spill
	v_add_f16_e32 v43, v216, v208
	v_mul_f16_e32 v216, 0xba62, v85
	v_fma_f16 v217, v97, s18, v216
	v_mul_f16_e32 v218, 0x3bb2, v87
	v_add_f16_e32 v217, v67, v217
	v_fma_f16 v219, v101, s23, v218
	v_add_f16_e32 v217, v219, v217
	v_mul_f16_e32 v219, 0xb5c8, v90
	v_fma_f16 v220, v106, s26, v219
	v_add_f16_e32 v217, v220, v217
	v_mul_f16_e32 v220, 0xb836, v92
	;; [unrolled: 3-line block ×7, first 2 shown]
	v_fma_f16 v226, v84, s18, -v225
	v_mul_f16_e32 v227, 0x3bb2, v96
	v_add_f16_e32 v226, v66, v226
	v_fma_f16 v228, v86, s23, -v227
	v_add_f16_e32 v226, v228, v226
	v_mul_f16_e32 v228, 0xb5c8, v100
	v_fma_f16 v229, v88, s26, -v228
	v_add_f16_e32 v226, v229, v226
	v_mul_f16_e32 v229, 0xb836, v105
	;; [unrolled: 3-line block ×7, first 2 shown]
	v_fma_f16 v235, v97, s25, v234
	v_mul_f16_e32 v236, 0x3b29, v87
	v_add_f16_e32 v235, v67, v235
	v_fma_f16 v237, v101, s15, v236
	v_add_f16_e32 v235, v237, v235
	v_mul_f16_e32 v237, 0xbbf7, v90
	v_fma_f16 v238, v106, s16, v237
	v_add_f16_e32 v235, v238, v235
	v_mul_f16_e32 v238, 0x3a62, v92
	;; [unrolled: 3-line block ×7, first 2 shown]
	v_fma_f16 v244, v84, s25, -v243
	v_mul_f16_e32 v245, 0x3b29, v96
	v_add_f16_e32 v244, v66, v244
	v_fma_f16 v246, v86, s15, -v245
	v_add_f16_e32 v244, v246, v244
	v_mul_f16_e32 v246, 0xbbf7, v100
	v_fma_f16 v247, v88, s16, -v246
	v_add_f16_e32 v244, v247, v244
	v_mul_f16_e32 v247, 0x3a62, v105
	;; [unrolled: 3-line block ×7, first 2 shown]
	v_fma_f16 v253, v97, s21, v252
	v_mul_f16_e32 v254, 0x35c8, v87
	v_add_f16_e32 v253, v67, v253
	v_fma_f16 v255, v101, s26, v254
	v_add_f16_e32 v253, v255, v253
	v_mul_f16_e32 v255, 0xb836, v90
	buffer_store_dword v43, off, s[44:47], 0 offset:12 ; 4-byte Folded Spill
	v_fma_f16 v43, v106, s25, v255
	v_add_f16_e32 v43, v43, v253
	v_mul_f16_e32 v253, 0x3964, v92
	v_mov_b32_e32 v62, v41
	v_fma_f16 v41, v111, s14, v253
	v_add_f16_e32 v41, v41, v43
	v_mul_f16_e32 v43, 0xba62, v95
	v_fma_f16 v46, v116, s18, v43
	v_add_f16_e32 v41, v46, v41
	v_mul_f16_e32 v46, 0x3b29, v99
	;; [unrolled: 3-line block ×5, first 2 shown]
	v_fma_f16 v58, v84, s21, -v57
	v_mul_f16_e32 v59, 0x35c8, v96
	v_add_f16_e32 v58, v66, v58
	v_fma_f16 v60, v86, s26, -v59
	v_add_f16_e32 v58, v60, v58
	v_mul_f16_e32 v60, 0xb836, v100
	v_fma_f16 v61, v88, s25, -v60
	v_add_f16_e32 v58, v61, v58
	v_mul_f16_e32 v61, 0x3964, v105
	;; [unrolled: 3-line block ×6, first 2 shown]
	v_fma_f16 v151, v102, s16, -v208
	v_add_f16_e32 v58, v151, v58
	v_fma_f16 v151, v97, s21, -v252
	v_add_f16_e32 v151, v67, v151
	;; [unrolled: 2-line block ×9, first 2 shown]
	v_fma_f16 v46, v84, s21, v57
	v_add_f16_e32 v46, v66, v46
	v_fma_f16 v55, v86, s26, v59
	v_add_f16_e32 v46, v55, v46
	v_fma_f16 v55, v88, s25, v60
	v_add_f16_e32 v46, v55, v46
	v_fma_f16 v55, v89, s14, v61
	v_add_f16_e32 v46, v55, v46
	v_fma_f16 v55, v91, s18, v123
	v_add_f16_e32 v46, v55, v46
	v_fma_f16 v55, v94, s15, v131
	v_add_f16_e32 v46, v55, v46
	v_fma_f16 v55, v98, s23, v140
	v_add_f16_e32 v46, v55, v46
	v_fma_f16 v55, v102, s16, v208
	v_add_f16_e32 v46, v55, v46
	v_fma_f16 v55, v97, s25, -v234
	v_add_f16_e32 v55, v67, v55
	v_fma_f16 v56, v101, s15, -v236
	v_add_f16_e32 v55, v56, v55
	v_fma_f16 v56, v106, s16, -v237
	v_add_f16_e32 v55, v56, v55
	v_fma_f16 v56, v111, s18, -v238
	v_add_f16_e32 v55, v56, v55
	v_fma_f16 v56, v116, s26, -v239
	v_add_f16_e32 v55, v56, v55
	v_fma_f16 v56, v122, s21, -v240
	v_add_f16_e32 v55, v56, v55
	v_fma_f16 v56, v129, s14, -v241
	v_add_f16_e32 v55, v56, v55
	v_fma_f16 v56, v133, s23, -v242
	v_add_f16_e32 v55, v56, v55
	v_fma_f16 v56, v84, s25, v243
	v_add_f16_e32 v56, v66, v56
	v_fma_f16 v57, v86, s15, v245
	v_add_f16_e32 v56, v57, v56
	v_fma_f16 v57, v88, s16, v246
	v_add_f16_e32 v56, v57, v56
	v_fma_f16 v57, v89, s18, v247
	v_add_f16_e32 v56, v57, v56
	v_fma_f16 v57, v91, s26, v248
	v_add_f16_e32 v56, v57, v56
	v_fma_f16 v57, v94, s21, v249
	v_add_f16_e32 v56, v57, v56
	v_fma_f16 v57, v98, s14, v250
	v_add_f16_e32 v56, v57, v56
	v_fma_f16 v57, v102, s23, v251
	v_add_f16_e32 v56, v57, v56
	v_fma_f16 v57, v97, s18, -v216
	v_add_f16_e32 v57, v67, v57
	v_fma_f16 v59, v101, s23, -v218
	v_add_f16_e32 v57, v59, v57
	v_fma_f16 v59, v106, s26, -v219
	v_add_f16_e32 v57, v59, v57
	v_fma_f16 v59, v111, s25, -v220
	v_add_f16_e32 v57, v59, v57
	v_fma_f16 v59, v116, s16, -v221
	v_add_f16_e32 v57, v59, v57
	v_fma_f16 v59, v122, s14, -v222
	v_add_f16_e32 v57, v59, v57
	v_fma_f16 v59, v129, s21, -v223
	v_add_f16_e32 v57, v59, v57
	v_fma_f16 v59, v133, s15, -v224
	v_add_f16_e32 v57, v59, v57
	;; [unrolled: 32-line block ×4, first 2 shown]
	v_fma_f16 v131, v84, s16, v191
	v_add_f16_e32 v131, v66, v131
	v_fma_f16 v140, v86, s21, v192
	v_add_f16_e32 v131, v140, v131
	;; [unrolled: 2-line block ×8, first 2 shown]
	v_mov_b32_e32 v140, v63
	v_mul_f16_e32 v63, 0xb964, v85
	v_sub_f16_e32 v107, v107, v63
	v_mul_f16_e32 v63, 0xbbf7, v87
	v_add_f16_e32 v107, v67, v107
	v_sub_f16_e32 v113, v113, v63
	v_mul_f16_e32 v63, 0xba62, v90
	v_add_f16_e32 v107, v113, v107
	;; [unrolled: 3-line block ×3, first 2 shown]
	v_add_f16_e32 v103, v63, v103
	v_mul_f16_e32 v63, 0x2de8, v86
	v_add_f16_e32 v23, v24, v23
	v_add_f16_e32 v103, v66, v103
	v_add_f16_e32 v109, v63, v109
	v_mul_f16_e32 v63, 0xb8d2, v88
	v_add_f16_e32 v23, v25, v23
	v_add_f16_e32 v103, v109, v103
	;; [unrolled: 4-line block ×6, first 2 shown]
	v_add_f16_e32 v109, v63, v137
	v_mul_f16_e32 v63, 0x3b76, v102
	v_add_f16_e32 v23, v32, v23
	v_mul_f16_e32 v179, 0xb1e1, v92
	v_add_f16_e32 v103, v109, v103
	v_add_f16_e32 v109, v63, v141
	v_mul_f16_e32 v97, 0x3b76, v97
	v_add_f16_e32 v23, v29, v23
	v_mul_f16_e32 v175, 0x3836, v95
	v_add_f16_e32 v107, v113, v107
	v_sub_f16_e32 v113, v125, v179
	v_add_f16_e32 v103, v109, v103
	v_fma_f16 v109, v85, s35, v97
	v_mul_f16_e32 v101, 0x39e9, v101
	v_add_f16_e32 v23, v30, v23
	v_mul_f16_e32 v172, 0x3bb2, v99
	v_add_f16_e32 v107, v113, v107
	v_sub_f16_e32 v113, v132, v175
	v_add_f16_e32 v109, v67, v109
	v_fma_f16 v112, v87, s33, v101
	v_mul_f16_e32 v106, 0x3722, v106
	v_add_f16_e32 v23, v33, v23
	v_mul_f16_e32 v176, 0x3b29, v104
	s_movk_i32 s38, 0x3bf7
	v_add_f16_e32 v107, v113, v107
	v_sub_f16_e32 v113, v136, v172
	v_add_f16_e32 v109, v112, v109
	v_fma_f16 v112, v90, s34, v106
	v_mul_f16_e32 v111, 0x2de8, v111
	v_add_f16_e32 v23, v34, v23
	v_mul_f16_e32 v180, 0x35c8, v108
	v_add_f16_e32 v107, v113, v107
	v_sub_f16_e32 v113, v142, v176
	v_add_f16_e32 v109, v112, v109
	v_fma_f16 v112, v92, s38, v111
	v_add_f16_e32 v23, v35, v23
	v_mul_f16_e32 v171, 0x3722, v84
	v_add_f16_e32 v107, v113, v107
	v_sub_f16_e32 v113, v145, v180
	v_add_f16_e32 v109, v112, v109
	v_mul_f16_e32 v112, 0xb461, v116
	v_add_f16_e32 v23, v36, v23
	v_mul_f16_e32 v168, 0xb8d2, v86
	v_add_f16_e32 v115, v171, v115
	v_add_f16_e32 v107, v113, v107
	v_fma_f16 v113, v95, s30, v112
	v_add_f16_e32 v13, v13, v23
	v_mul_f16_e32 v164, 0xbbdd, v88
	s_movk_i32 s37, 0x3a62
	v_add_f16_e32 v115, v66, v115
	v_add_f16_e32 v121, v168, v121
	;; [unrolled: 1-line block ×3, first 2 shown]
	v_mul_f16_e32 v113, 0xb8d2, v122
	v_add_f16_e32 v13, v14, v13
	v_add_f16_e32 v14, v68, v67
	v_fma_f16 v23, v85, s27, v97
	v_mul_f16_e32 v165, 0xb461, v89
	v_add_f16_e32 v115, v121, v115
	v_add_f16_e32 v121, v164, v127
	v_fma_f16 v116, v99, s37, v113
	v_add_f16_e32 v14, v70, v14
	v_add_f16_e32 v23, v67, v23
	v_fma_f16 v24, v87, s17, v101
	v_mul_f16_e32 v169, 0x39e9, v91
	v_add_f16_e32 v115, v121, v115
	v_add_f16_e32 v121, v165, v135
	;; [unrolled: 1-line block ×3, first 2 shown]
	v_mul_f16_e32 v116, 0xbacd, v129
	v_add_f16_e32 v14, v71, v14
	v_add_f16_e32 v23, v24, v23
	v_fma_f16 v24, v90, s19, v106
	v_mul_f16_e32 v173, 0x3b76, v94
	s_mov_b32 s36, 0xbbb2
	v_add_f16_e32 v115, v121, v115
	v_add_f16_e32 v121, v169, v139
	v_fma_f16 v117, v104, s31, v116
	v_add_f16_e32 v14, v69, v14
	v_add_f16_e32 v23, v24, v23
	v_fma_f16 v24, v92, s20, v111
	v_mul_f16_e32 v177, 0x2de8, v98
	v_add_f16_e32 v115, v121, v115
	v_add_f16_e32 v121, v173, v143
	;; [unrolled: 1-line block ×3, first 2 shown]
	v_mul_f16_e32 v117, 0xbbdd, v133
	v_add_f16_e32 v14, v72, v14
	v_add_f16_e32 v23, v24, v23
	v_fma_f16 v24, v95, s36, v112
	v_mul_f16_e32 v181, 0xbacd, v102
	v_add_f16_e32 v115, v121, v115
	v_add_f16_e32 v121, v177, v146
	v_fma_f16 v118, v108, s28, v117
	;; [unrolled: 4-line block ×3, first 2 shown]
	v_add_f16_e32 v115, v121, v115
	v_add_f16_e32 v121, v181, v148
	;; [unrolled: 1-line block ×3, first 2 shown]
	v_fma_f16 v118, v84, s26, v93
	v_mul_f16_e32 v96, 0xb964, v96
	v_add_f16_e32 v14, v75, v14
	v_add_f16_e32 v23, v24, v23
	v_fma_f16 v24, v104, s29, v116
	v_mul_f16_e32 v161, 0xbb29, v85
	v_add_f16_e32 v115, v121, v115
	v_add_f16_e32 v118, v66, v118
	;; [unrolled: 4-line block ×3, first 2 shown]
	v_fma_f16 v24, v108, s24, v117
	v_mul_f16_e32 v160, 0xba62, v87
	v_sub_f16_e32 v120, v120, v161
	v_add_f16_e32 v118, v121, v118
	v_fma_f16 v121, v88, s15, v100
	v_mul_f16_e32 v105, 0xbbf7, v105
	v_add_f16_e32 v14, v74, v14
	v_add_f16_e32 v23, v24, v23
	v_fma_f16 v24, v84, s26, -v93
	v_mul_f16_e32 v162, 0x31e1, v90
	v_add_f16_e32 v120, v67, v120
	v_sub_f16_e32 v128, v128, v160
	v_add_f16_e32 v118, v121, v118
	v_fma_f16 v121, v89, s16, v105
	v_mul_f16_e32 v110, 0xbbb2, v110
	v_add_f16_e32 v14, v77, v14
	v_add_f16_e32 v24, v66, v24
	v_fma_f16 v25, v86, s14, -v96
	v_mul_f16_e32 v166, 0x3bb2, v92
	v_add_f16_e32 v120, v128, v120
	;; [unrolled: 9-line block ×4, first 2 shown]
	v_sub_f16_e32 v128, v144, v170
	v_add_f16_e32 v118, v121, v118
	v_fma_f16 v121, v98, s25, v119
	v_add_f16_e32 v14, v81, v14
	v_add_f16_e32 v24, v25, v24
	v_fma_f16 v25, v91, s23, -v110
	v_mul_f16_e32 v178, 0xbbf7, v104
	v_add_f16_e32 v120, v128, v120
	v_sub_f16_e32 v128, v147, v158
	v_add_f16_e32 v118, v121, v118
	v_mul_f16_e32 v121, 0xb1e1, v124
	v_add_f16_e32 v14, v79, v14
	v_add_f16_e32 v24, v25, v24
	v_fma_f16 v25, v94, s18, -v114
	v_mul_f16_e32 v182, 0xb836, v108
	v_add_f16_e32 v120, v128, v120
	v_sub_f16_e32 v128, v149, v178
	v_fma_f16 v122, v102, s21, v121
	v_add_f16_e32 v14, v65, v14
	v_add_f16_e32 v24, v25, v24
	v_fma_f16 v25, v98, s25, -v119
	v_add_f16_e32 v120, v128, v120
	v_sub_f16_e32 v128, v150, v182
	v_add_f16_e32 v118, v122, v118
	v_add_f16_e32 v14, v44, v14
	;; [unrolled: 1-line block ×3, first 2 shown]
	v_fma_f16 v25, v102, s21, -v121
	v_add_f16_e32 v120, v128, v120
	v_add_f16_e32 v24, v25, v24
	v_lshl_add_u32 v25, v62, 2, v174
	v_pack_b32_f16 v26, v118, v109
	v_pack_b32_f16 v13, v13, v14
	ds_write2_b32 v25, v13, v26 offset1:1
	v_pack_b32_f16 v13, v115, v120
	v_pack_b32_f16 v14, v103, v107
	ds_write2_b32 v25, v14, v13 offset0:2 offset1:3
	v_pack_b32_f16 v13, v61, v60
	v_pack_b32_f16 v14, v131, v123
	ds_write2_b32 v25, v14, v13 offset0:4 offset1:5
	;; [unrolled: 3-line block ×5, first 2 shown]
	buffer_load_dword v13, off, s[44:47], 0 ; 4-byte Folded Reload
	buffer_load_dword v14, off, s[44:47], 0 offset:4 ; 4-byte Folded Reload
	s_mov_b32 s14, 0x5040100
	s_waitcnt vmcnt(0)
	v_pack_b32_f16 v13, v14, v13
	buffer_load_dword v14, off, s[44:47], 0 offset:8 ; 4-byte Folded Reload
	buffer_load_dword v26, off, s[44:47], 0 offset:12 ; 4-byte Folded Reload
	s_waitcnt vmcnt(0)
	v_pack_b32_f16 v14, v26, v14
	ds_write2_b32 v25, v14, v13 offset0:12 offset1:13
	v_perm_b32 v13, v82, v38, s14
	v_perm_b32 v14, v83, v37, s14
	ds_write2_b32 v25, v14, v13 offset0:14 offset1:15
	v_pack_b32_f16 v13, v24, v23
	ds_write_b32 v25, v13 offset:64
.LBB0_17:
	s_or_b64 exec, exec, s[4:5]
	v_add_u32_e32 v29, 0x400, v45
	s_waitcnt lgkmcnt(0)
	s_barrier
	ds_read2_b32 v[27:28], v45 offset1:34
	ds_read2_b32 v[13:14], v45 offset0:204 offset1:255
	ds_read2_b32 v[33:34], v29 offset0:33 offset1:67
	;; [unrolled: 1-line block ×6, first 2 shown]
	s_and_saveexec_b64 s[4:5], s[2:3]
	s_cbranch_execz .LBB0_19
; %bb.18:
	v_add_u32_e32 v35, 0x3b8, v45
	ds_read2_b32 v[37:38], v35 offset1:255
	s_waitcnt lgkmcnt(0)
	v_lshrrev_b32_e32 v83, 16, v37
	v_lshrrev_b32_e32 v82, 16, v38
.LBB0_19:
	s_or_b64 exec, exec, s[4:5]
	s_waitcnt lgkmcnt(5)
	v_lshrrev_b32_e32 v43, 16, v14
	v_mul_f16_sdwa v68, v48, v43 dst_sel:DWORD dst_unused:UNUSED_PAD src0_sel:WORD_1 src1_sel:DWORD
	s_waitcnt lgkmcnt(4)
	v_lshrrev_b32_e32 v46, 16, v33
	v_fma_f16 v68, v48, v14, v68
	v_mul_f16_sdwa v14, v48, v14 dst_sel:DWORD dst_unused:UNUSED_PAD src0_sel:WORD_1 src1_sel:DWORD
	v_fma_f16 v14, v48, v43, -v14
	v_mul_f16_sdwa v43, v49, v46 dst_sel:DWORD dst_unused:UNUSED_PAD src0_sel:WORD_1 src1_sel:DWORD
	s_waitcnt lgkmcnt(2)
	v_lshrrev_b32_e32 v60, 16, v32
	v_fma_f16 v43, v49, v33, v43
	v_mul_f16_sdwa v33, v49, v33 dst_sel:DWORD dst_unused:UNUSED_PAD src0_sel:WORD_1 src1_sel:DWORD
	v_lshrrev_b32_e32 v56, 16, v34
	v_fma_f16 v33, v49, v46, -v33
	v_mul_f16_sdwa v49, v52, v60 dst_sel:DWORD dst_unused:UNUSED_PAD src0_sel:WORD_1 src1_sel:DWORD
	v_lshrrev_b32_e32 v41, 16, v27
	v_lshrrev_b32_e32 v58, 16, v31
	v_mul_f16_sdwa v46, v50, v56 dst_sel:DWORD dst_unused:UNUSED_PAD src0_sel:WORD_1 src1_sel:DWORD
	v_fma_f16 v49, v52, v32, v49
	v_mul_f16_sdwa v32, v52, v32 dst_sel:DWORD dst_unused:UNUSED_PAD src0_sel:WORD_1 src1_sel:DWORD
	v_lshrrev_b32_e32 v44, 16, v28
	s_waitcnt lgkmcnt(0)
	v_lshrrev_b32_e32 v65, 16, v29
	v_fma_f16 v46, v50, v34, v46
	v_mul_f16_sdwa v34, v50, v34 dst_sel:DWORD dst_unused:UNUSED_PAD src0_sel:WORD_1 src1_sel:DWORD
	v_mul_f16_sdwa v48, v51, v58 dst_sel:DWORD dst_unused:UNUSED_PAD src0_sel:WORD_1 src1_sel:DWORD
	v_fma_f16 v32, v52, v60, -v32
	v_sub_f16_e32 v52, v27, v68
	v_sub_f16_e32 v14, v41, v14
	v_lshrrev_b32_e32 v55, 16, v25
	v_lshrrev_b32_e32 v67, 16, v30
	v_fma_f16 v34, v50, v56, -v34
	v_fma_f16 v48, v51, v31, v48
	v_mul_f16_sdwa v31, v51, v31 dst_sel:DWORD dst_unused:UNUSED_PAD src0_sel:WORD_1 src1_sel:DWORD
	v_mul_f16_sdwa v50, v53, v65 dst_sel:DWORD dst_unused:UNUSED_PAD src0_sel:WORD_1 src1_sel:DWORD
	v_fma_f16 v27, v27, 2.0, -v52
	v_fma_f16 v41, v41, 2.0, -v14
	v_sub_f16_e32 v43, v28, v43
	v_sub_f16_e32 v33, v44, v33
	v_lshrrev_b32_e32 v57, 16, v26
	v_fma_f16 v31, v51, v58, -v31
	v_fma_f16 v50, v53, v29, v50
	v_mul_f16_sdwa v29, v53, v29 dst_sel:DWORD dst_unused:UNUSED_PAD src0_sel:WORD_1 src1_sel:DWORD
	v_mul_f16_sdwa v51, v54, v67 dst_sel:DWORD dst_unused:UNUSED_PAD src0_sel:WORD_1 src1_sel:DWORD
	v_fma_f16 v28, v28, 2.0, -v43
	v_fma_f16 v44, v44, 2.0, -v33
	v_sub_f16_e32 v46, v25, v46
	v_sub_f16_e32 v34, v55, v34
	v_pack_b32_f16 v27, v27, v41
	v_pack_b32_f16 v14, v52, v14
	v_lshrrev_b32_e32 v59, 16, v23
	v_fma_f16 v29, v53, v65, -v29
	v_fma_f16 v51, v54, v30, v51
	v_mul_f16_sdwa v30, v54, v30 dst_sel:DWORD dst_unused:UNUSED_PAD src0_sel:WORD_1 src1_sel:DWORD
	v_fma_f16 v25, v25, 2.0, -v46
	v_fma_f16 v53, v55, 2.0, -v34
	v_sub_f16_e32 v48, v26, v48
	v_sub_f16_e32 v31, v57, v31
	s_barrier
	ds_write2_b32 v159, v27, v14 offset1:17
	v_pack_b32_f16 v14, v28, v44
	v_pack_b32_f16 v27, v43, v33
	v_lshrrev_b32_e32 v61, 16, v24
	v_fma_f16 v30, v54, v67, -v30
	v_fma_f16 v26, v26, 2.0, -v48
	v_fma_f16 v54, v57, 2.0, -v31
	v_sub_f16_e32 v49, v23, v49
	v_sub_f16_e32 v32, v59, v32
	ds_write2_b32 v152, v14, v27 offset1:17
	v_pack_b32_f16 v14, v25, v53
	v_pack_b32_f16 v25, v46, v34
	v_lshrrev_b32_e32 v66, 16, v13
	v_fma_f16 v23, v23, 2.0, -v49
	v_fma_f16 v55, v59, 2.0, -v32
	v_sub_f16_e32 v50, v24, v50
	v_sub_f16_e32 v29, v61, v29
	ds_write2_b32 v153, v14, v25 offset1:17
	v_pack_b32_f16 v14, v26, v54
	v_pack_b32_f16 v25, v48, v31
	v_fma_f16 v24, v24, 2.0, -v50
	v_fma_f16 v56, v61, 2.0, -v29
	v_sub_f16_e32 v51, v13, v51
	v_sub_f16_e32 v30, v66, v30
	ds_write2_b32 v154, v14, v25 offset1:17
	v_pack_b32_f16 v14, v23, v55
	v_pack_b32_f16 v23, v49, v32
	v_fma_f16 v13, v13, 2.0, -v51
	v_fma_f16 v57, v66, 2.0, -v30
	ds_write2_b32 v155, v14, v23 offset1:17
	v_pack_b32_f16 v14, v24, v56
	v_pack_b32_f16 v23, v50, v29
	v_add_u32_e32 v36, 0x88, v42
	v_add_u32_e32 v35, 0x110, v42
	ds_write2_b32 v156, v14, v23 offset1:17
	v_pack_b32_f16 v13, v13, v57
	v_pack_b32_f16 v14, v51, v30
	ds_write2_b32 v157, v13, v14 offset1:17
	s_and_saveexec_b64 s[4:5], s[2:3]
	s_cbranch_execz .LBB0_21
; %bb.20:
	v_mul_f16_sdwa v13, v47, v82 dst_sel:DWORD dst_unused:UNUSED_PAD src0_sel:WORD_1 src1_sel:DWORD
	v_mul_f16_sdwa v23, v47, v38 dst_sel:DWORD dst_unused:UNUSED_PAD src0_sel:WORD_1 src1_sel:DWORD
	v_fma_f16 v13, v47, v38, v13
	v_fma_f16 v23, v47, v82, -v23
	v_sub_f16_e32 v13, v37, v13
	v_sub_f16_e32 v23, v83, v23
	v_fma_f16 v14, v37, 2.0, -v13
	v_fma_f16 v24, v83, 2.0, -v23
	v_lshl_add_u32 v25, v140, 2, v174
	v_pack_b32_f16 v14, v14, v24
	v_pack_b32_f16 v13, v13, v23
	v_add_u32_e32 v23, 0x400, v25
	ds_write2_b32 v23, v14, v13 offset0:220 offset1:237
.LBB0_21:
	s_or_b64 exec, exec, s[4:5]
	s_waitcnt lgkmcnt(0)
	s_barrier
	ds_read2_b32 v[13:14], v45 offset1:34
	ds_read2_b32 v[23:24], v45 offset0:136 offset1:170
	v_add_u32_e32 v37, 0x400, v45
	ds_read2_b32 v[25:26], v37 offset0:84 offset1:118
	ds_read2_b32 v[27:28], v45 offset0:204 offset1:238
	;; [unrolled: 1-line block ×3, first 2 shown]
	s_waitcnt lgkmcnt(3)
	v_lshrrev_b32_e32 v41, 16, v24
	v_mul_f16_sdwa v58, v15, v41 dst_sel:DWORD dst_unused:UNUSED_PAD src0_sel:WORD_1 src1_sel:DWORD
	s_waitcnt lgkmcnt(2)
	v_lshrrev_b32_e32 v43, 16, v25
	v_fma_f16 v58, v15, v24, v58
	v_mul_f16_sdwa v24, v15, v24 dst_sel:DWORD dst_unused:UNUSED_PAD src0_sel:WORD_1 src1_sel:DWORD
	v_fma_f16 v24, v15, v41, -v24
	v_mul_f16_sdwa v41, v16, v43 dst_sel:DWORD dst_unused:UNUSED_PAD src0_sel:WORD_1 src1_sel:DWORD
	s_waitcnt lgkmcnt(1)
	v_lshrrev_b32_e32 v46, 16, v27
	v_fma_f16 v41, v16, v25, v41
	v_mul_f16_sdwa v25, v16, v25 dst_sel:DWORD dst_unused:UNUSED_PAD src0_sel:WORD_1 src1_sel:DWORD
	v_fma_f16 v25, v16, v43, -v25
	v_mul_f16_sdwa v43, v15, v46 dst_sel:DWORD dst_unused:UNUSED_PAD src0_sel:WORD_1 src1_sel:DWORD
	v_lshrrev_b32_e32 v47, 16, v26
	v_fma_f16 v43, v15, v27, v43
	v_mul_f16_sdwa v27, v15, v27 dst_sel:DWORD dst_unused:UNUSED_PAD src0_sel:WORD_1 src1_sel:DWORD
	ds_read2_b32 v[33:34], v37 offset0:16 offset1:50
	v_fma_f16 v15, v15, v46, -v27
	v_mul_f16_sdwa v27, v16, v47 dst_sel:DWORD dst_unused:UNUSED_PAD src0_sel:WORD_1 src1_sel:DWORD
	v_lshrrev_b32_e32 v49, 16, v28
	v_fma_f16 v27, v16, v26, v27
	v_mul_f16_sdwa v26, v16, v26 dst_sel:DWORD dst_unused:UNUSED_PAD src0_sel:WORD_1 src1_sel:DWORD
	v_fma_f16 v16, v16, v47, -v26
	v_mul_f16_sdwa v26, v21, v49 dst_sel:DWORD dst_unused:UNUSED_PAD src0_sel:WORD_1 src1_sel:DWORD
	s_waitcnt lgkmcnt(1)
	v_lshrrev_b32_e32 v50, 16, v31
	v_fma_f16 v26, v21, v28, v26
	v_mul_f16_sdwa v28, v21, v28 dst_sel:DWORD dst_unused:UNUSED_PAD src0_sel:WORD_1 src1_sel:DWORD
	v_fma_f16 v21, v21, v49, -v28
	v_mul_f16_sdwa v28, v22, v50 dst_sel:DWORD dst_unused:UNUSED_PAD src0_sel:WORD_1 src1_sel:DWORD
	s_waitcnt lgkmcnt(0)
	v_lshrrev_b32_e32 v53, 16, v33
	v_fma_f16 v28, v22, v31, v28
	v_mul_f16_sdwa v31, v22, v31 dst_sel:DWORD dst_unused:UNUSED_PAD src0_sel:WORD_1 src1_sel:DWORD
	ds_read_b32 v52, v45 offset:1904
	v_fma_f16 v22, v22, v50, -v31
	v_mul_f16_sdwa v31, v19, v53 dst_sel:DWORD dst_unused:UNUSED_PAD src0_sel:WORD_1 src1_sel:DWORD
	v_lshrrev_b32_e32 v54, 16, v32
	v_fma_f16 v31, v19, v33, v31
	v_mul_f16_sdwa v33, v19, v33 dst_sel:DWORD dst_unused:UNUSED_PAD src0_sel:WORD_1 src1_sel:DWORD
	v_fma_f16 v19, v19, v53, -v33
	v_mul_f16_sdwa v33, v20, v54 dst_sel:DWORD dst_unused:UNUSED_PAD src0_sel:WORD_1 src1_sel:DWORD
	v_lshrrev_b32_e32 v56, 16, v34
	v_fma_f16 v33, v20, v32, v33
	v_mul_f16_sdwa v32, v20, v32 dst_sel:DWORD dst_unused:UNUSED_PAD src0_sel:WORD_1 src1_sel:DWORD
	v_fma_f16 v20, v20, v54, -v32
	v_mul_f16_sdwa v32, v17, v56 dst_sel:DWORD dst_unused:UNUSED_PAD src0_sel:WORD_1 src1_sel:DWORD
	s_waitcnt lgkmcnt(0)
	v_lshrrev_b32_e32 v57, 16, v52
	v_fma_f16 v32, v17, v34, v32
	v_mul_f16_sdwa v34, v17, v34 dst_sel:DWORD dst_unused:UNUSED_PAD src0_sel:WORD_1 src1_sel:DWORD
	v_fma_f16 v17, v17, v56, -v34
	v_mul_f16_sdwa v34, v18, v57 dst_sel:DWORD dst_unused:UNUSED_PAD src0_sel:WORD_1 src1_sel:DWORD
	v_mul_f16_sdwa v46, v18, v52 dst_sel:DWORD dst_unused:UNUSED_PAD src0_sel:WORD_1 src1_sel:DWORD
	v_add_f16_e32 v47, v58, v41
	v_lshrrev_b32_e32 v38, 16, v13
	v_fma_f16 v34, v18, v52, v34
	v_fma_f16 v18, v18, v57, -v46
	v_add_f16_e32 v46, v13, v58
	v_fma_f16 v13, v47, -0.5, v13
	v_sub_f16_e32 v47, v24, v25
	s_mov_b32 s2, 0xbaee
	s_movk_i32 s3, 0x3aee
	ds_read2_b32 v[29:30], v45 offset0:68 offset1:102
	v_fma_f16 v49, v47, s2, v13
	v_fma_f16 v13, v47, s3, v13
	v_add_f16_e32 v47, v38, v24
	v_add_f16_e32 v24, v24, v25
	;; [unrolled: 1-line block ×4, first 2 shown]
	v_fma_f16 v24, v24, -0.5, v38
	v_sub_f16_e32 v25, v58, v41
	v_add_f16_e32 v41, v43, v27
	v_lshrrev_b32_e32 v44, 16, v14
	v_fma_f16 v38, v25, s3, v24
	v_fma_f16 v24, v25, s2, v24
	v_add_f16_e32 v25, v14, v43
	v_fma_f16 v14, v41, -0.5, v14
	v_sub_f16_e32 v41, v15, v16
	v_fma_f16 v50, v41, s2, v14
	v_fma_f16 v14, v41, s3, v14
	v_add_f16_e32 v41, v44, v15
	v_add_f16_e32 v15, v15, v16
	;; [unrolled: 1-line block ×3, first 2 shown]
	v_fma_f16 v15, v15, -0.5, v44
	v_sub_f16_e32 v16, v43, v27
	v_add_f16_e32 v43, v26, v28
	s_waitcnt lgkmcnt(0)
	v_lshrrev_b32_e32 v48, 16, v29
	v_add_f16_e32 v25, v25, v27
	v_fma_f16 v27, v16, s3, v15
	v_fma_f16 v15, v16, s2, v15
	v_add_f16_e32 v16, v29, v26
	v_fma_f16 v29, v43, -0.5, v29
	v_sub_f16_e32 v43, v21, v22
	v_fma_f16 v44, v43, s2, v29
	v_fma_f16 v29, v43, s3, v29
	v_add_f16_e32 v43, v48, v21
	v_add_f16_e32 v21, v21, v22
	;; [unrolled: 1-line block ×4, first 2 shown]
	v_fma_f16 v21, v21, -0.5, v48
	v_sub_f16_e32 v22, v26, v28
	v_add_f16_e32 v28, v31, v33
	v_lshrrev_b32_e32 v51, 16, v30
	v_fma_f16 v26, v22, s3, v21
	v_fma_f16 v21, v22, s2, v21
	v_add_f16_e32 v22, v30, v31
	v_fma_f16 v28, v28, -0.5, v30
	v_sub_f16_e32 v30, v19, v20
	v_fma_f16 v48, v30, s2, v28
	v_fma_f16 v28, v30, s3, v28
	v_add_f16_e32 v30, v51, v19
	v_add_f16_e32 v19, v19, v20
	;; [unrolled: 1-line block ×4, first 2 shown]
	v_fma_f16 v19, v19, -0.5, v51
	v_sub_f16_e32 v20, v31, v33
	v_add_f16_e32 v33, v32, v34
	v_lshrrev_b32_e32 v55, 16, v23
	v_fma_f16 v31, v20, s3, v19
	v_fma_f16 v19, v20, s2, v19
	v_add_f16_e32 v20, v23, v32
	v_fma_f16 v23, v33, -0.5, v23
	v_sub_f16_e32 v33, v17, v18
	v_fma_f16 v51, v33, s2, v23
	v_fma_f16 v23, v33, s3, v23
	v_add_f16_e32 v33, v55, v17
	v_add_f16_e32 v17, v17, v18
	;; [unrolled: 1-line block ×3, first 2 shown]
	v_fma_f16 v17, v17, -0.5, v55
	v_sub_f16_e32 v18, v32, v34
	v_add_f16_e32 v20, v20, v34
	v_fma_f16 v32, v18, s3, v17
	v_fma_f16 v17, v18, s2, v17
	v_pack_b32_f16 v18, v46, v47
	v_pack_b32_f16 v34, v49, v38
	s_barrier
	ds_write2_b32 v45, v18, v34 offset1:34
	v_pack_b32_f16 v13, v13, v24
	v_pack_b32_f16 v18, v25, v41
	ds_write2_b32 v45, v13, v18 offset0:68 offset1:102
	v_pack_b32_f16 v13, v50, v27
	v_pack_b32_f16 v14, v14, v15
	ds_write2_b32 v45, v13, v14 offset0:136 offset1:170
	;; [unrolled: 3-line block ×3, first 2 shown]
	v_pack_b32_f16 v13, v29, v21
	ds_write_b32 v167, v13 offset:1088
	v_pack_b32_f16 v13, v22, v30
	v_pack_b32_f16 v14, v48, v31
	v_add_u32_e32 v15, 0x400, v163
	ds_write2_b32 v15, v13, v14 offset0:50 offset1:84
	v_pack_b32_f16 v13, v28, v19
	ds_write_b32 v163, v13 offset:1496
	v_pack_b32_f16 v13, v20, v33
	v_pack_b32_f16 v14, v51, v32
	v_add_u32_e32 v15, 0x400, v64
	ds_write2_b32 v15, v13, v14 offset0:152 offset1:186
	v_pack_b32_f16 v13, v23, v17
	ds_write_b32 v64, v13 offset:1904
	s_waitcnt lgkmcnt(0)
	s_barrier
	ds_read2_b32 v[13:14], v45 offset1:34
	ds_read2_b32 v[15:16], v45 offset0:68 offset1:102
	ds_read2_b32 v[17:18], v45 offset0:204 offset1:238
	;; [unrolled: 1-line block ×5, first 2 shown]
	s_waitcnt lgkmcnt(4)
	v_lshrrev_b32_e32 v28, 16, v16
	v_mul_f16_sdwa v48, v0, v28 dst_sel:DWORD dst_unused:UNUSED_PAD src0_sel:WORD_1 src1_sel:DWORD
	s_waitcnt lgkmcnt(3)
	v_lshrrev_b32_e32 v29, 16, v17
	v_fma_f16 v48, v0, v16, v48
	v_mul_f16_sdwa v16, v0, v16 dst_sel:DWORD dst_unused:UNUSED_PAD src0_sel:WORD_1 src1_sel:DWORD
	v_fma_f16 v0, v0, v28, -v16
	v_mul_f16_sdwa v16, v1, v29 dst_sel:DWORD dst_unused:UNUSED_PAD src0_sel:WORD_1 src1_sel:DWORD
	s_waitcnt lgkmcnt(2)
	v_lshrrev_b32_e32 v30, 16, v20
	v_fma_f16 v16, v1, v17, v16
	v_mul_f16_sdwa v17, v1, v17 dst_sel:DWORD dst_unused:UNUSED_PAD src0_sel:WORD_1 src1_sel:DWORD
	v_fma_f16 v1, v1, v29, -v17
	v_mul_f16_sdwa v17, v2, v30 dst_sel:DWORD dst_unused:UNUSED_PAD src0_sel:WORD_1 src1_sel:DWORD
	s_waitcnt lgkmcnt(1)
	v_lshrrev_b32_e32 v31, 16, v21
	v_fma_f16 v17, v2, v20, v17
	v_mul_f16_sdwa v20, v2, v20 dst_sel:DWORD dst_unused:UNUSED_PAD src0_sel:WORD_1 src1_sel:DWORD
	ds_read2_b32 v[25:26], v37 offset0:84 offset1:118
	v_fma_f16 v2, v2, v30, -v20
	v_mul_f16_sdwa v20, v3, v31 dst_sel:DWORD dst_unused:UNUSED_PAD src0_sel:WORD_1 src1_sel:DWORD
	s_waitcnt lgkmcnt(1)
	v_lshrrev_b32_e32 v33, 16, v23
	v_fma_f16 v20, v3, v21, v20
	v_mul_f16_sdwa v21, v3, v21 dst_sel:DWORD dst_unused:UNUSED_PAD src0_sel:WORD_1 src1_sel:DWORD
	v_fma_f16 v3, v3, v31, -v21
	v_mul_f16_sdwa v21, v4, v33 dst_sel:DWORD dst_unused:UNUSED_PAD src0_sel:WORD_1 src1_sel:DWORD
	v_lshrrev_b32_e32 v34, 16, v18
	v_fma_f16 v21, v4, v23, v21
	v_mul_f16_sdwa v23, v4, v23 dst_sel:DWORD dst_unused:UNUSED_PAD src0_sel:WORD_1 src1_sel:DWORD
	v_fma_f16 v4, v4, v33, -v23
	v_mul_f16_sdwa v23, v5, v34 dst_sel:DWORD dst_unused:UNUSED_PAD src0_sel:WORD_1 src1_sel:DWORD
	s_waitcnt lgkmcnt(0)
	v_lshrrev_b32_e32 v37, 16, v25
	v_fma_f16 v23, v5, v18, v23
	v_mul_f16_sdwa v18, v5, v18 dst_sel:DWORD dst_unused:UNUSED_PAD src0_sel:WORD_1 src1_sel:DWORD
	v_fma_f16 v5, v5, v34, -v18
	v_mul_f16_sdwa v18, v6, v37 dst_sel:DWORD dst_unused:UNUSED_PAD src0_sel:WORD_1 src1_sel:DWORD
	v_lshrrev_b32_e32 v38, 16, v22
	v_fma_f16 v18, v6, v25, v18
	v_mul_f16_sdwa v25, v6, v25 dst_sel:DWORD dst_unused:UNUSED_PAD src0_sel:WORD_1 src1_sel:DWORD
	v_fma_f16 v6, v6, v37, -v25
	v_mul_f16_sdwa v25, v7, v38 dst_sel:DWORD dst_unused:UNUSED_PAD src0_sel:WORD_1 src1_sel:DWORD
	v_lshrrev_b32_e32 v44, 16, v24
	v_fma_f16 v25, v7, v22, v25
	v_mul_f16_sdwa v22, v7, v22 dst_sel:DWORD dst_unused:UNUSED_PAD src0_sel:WORD_1 src1_sel:DWORD
	ds_read_b32 v41, v45 offset:1904
	v_fma_f16 v7, v7, v38, -v22
	v_mul_f16_sdwa v22, v8, v44 dst_sel:DWORD dst_unused:UNUSED_PAD src0_sel:WORD_1 src1_sel:DWORD
	v_lshrrev_b32_e32 v45, 16, v19
	v_fma_f16 v22, v8, v24, v22
	v_mul_f16_sdwa v24, v8, v24 dst_sel:DWORD dst_unused:UNUSED_PAD src0_sel:WORD_1 src1_sel:DWORD
	v_fma_f16 v8, v8, v44, -v24
	v_mul_f16_sdwa v24, v9, v45 dst_sel:DWORD dst_unused:UNUSED_PAD src0_sel:WORD_1 src1_sel:DWORD
	v_lshrrev_b32_e32 v46, 16, v26
	v_fma_f16 v24, v9, v19, v24
	v_mul_f16_sdwa v19, v9, v19 dst_sel:DWORD dst_unused:UNUSED_PAD src0_sel:WORD_1 src1_sel:DWORD
	v_add_f16_e32 v29, v16, v17
	v_fma_f16 v9, v9, v45, -v19
	v_mul_f16_sdwa v19, v10, v46 dst_sel:DWORD dst_unused:UNUSED_PAD src0_sel:WORD_1 src1_sel:DWORD
	v_fma_f16 v29, v29, -0.5, v13
	v_sub_f16_e32 v30, v0, v3
	s_mov_b32 s2, 0xbb9c
	s_movk_i32 s5, 0x3b9c
	s_waitcnt lgkmcnt(0)
	v_lshrrev_b32_e32 v47, 16, v41
	v_fma_f16 v19, v10, v26, v19
	v_mul_f16_sdwa v26, v10, v26 dst_sel:DWORD dst_unused:UNUSED_PAD src0_sel:WORD_1 src1_sel:DWORD
	v_fma_f16 v31, v30, s2, v29
	v_sub_f16_e32 v33, v1, v2
	s_mov_b32 s3, 0xb8b4
	v_sub_f16_e32 v34, v48, v16
	v_sub_f16_e32 v37, v20, v17
	v_fma_f16 v29, v30, s5, v29
	s_movk_i32 s14, 0x38b4
	v_fma_f16 v10, v10, v46, -v26
	v_mul_f16_sdwa v26, v11, v47 dst_sel:DWORD dst_unused:UNUSED_PAD src0_sel:WORD_1 src1_sel:DWORD
	v_mul_f16_sdwa v28, v11, v41 dst_sel:DWORD dst_unused:UNUSED_PAD src0_sel:WORD_1 src1_sel:DWORD
	v_fma_f16 v31, v33, s3, v31
	v_add_f16_e32 v34, v34, v37
	s_movk_i32 s4, 0x34f2
	v_fma_f16 v29, v33, s14, v29
	v_fma_f16 v26, v11, v41, v26
	v_fma_f16 v11, v11, v47, -v28
	v_add_f16_e32 v28, v13, v48
	v_fma_f16 v31, v34, s4, v31
	v_fma_f16 v29, v34, s4, v29
	v_add_f16_e32 v34, v48, v20
	v_lshrrev_b32_e32 v27, 16, v13
	v_add_f16_e32 v28, v28, v16
	v_fma_f16 v13, v34, -0.5, v13
	v_add_f16_e32 v28, v28, v17
	v_fma_f16 v34, v33, s5, v13
	v_sub_f16_e32 v37, v16, v48
	v_sub_f16_e32 v38, v17, v20
	v_fma_f16 v13, v33, s2, v13
	v_add_f16_e32 v33, v1, v2
	v_add_f16_e32 v28, v28, v20
	v_fma_f16 v34, v30, s3, v34
	v_add_f16_e32 v37, v37, v38
	v_fma_f16 v13, v30, s14, v13
	v_fma_f16 v33, v33, -0.5, v27
	v_sub_f16_e32 v20, v48, v20
	v_fma_f16 v34, v37, s4, v34
	v_fma_f16 v13, v37, s4, v13
	;; [unrolled: 1-line block ×3, first 2 shown]
	v_sub_f16_e32 v16, v16, v17
	v_fma_f16 v17, v16, s14, v37
	v_sub_f16_e32 v37, v0, v1
	v_sub_f16_e32 v38, v3, v2
	v_fma_f16 v33, v20, s2, v33
	v_add_f16_e32 v30, v27, v0
	v_add_f16_e32 v37, v37, v38
	v_fma_f16 v33, v16, s3, v33
	v_add_f16_e32 v30, v30, v1
	v_fma_f16 v17, v37, s4, v17
	v_fma_f16 v33, v37, s4, v33
	v_add_f16_e32 v37, v0, v3
	v_add_f16_e32 v30, v30, v2
	v_fma_f16 v27, v37, -0.5, v27
	v_add_f16_e32 v30, v30, v3
	v_fma_f16 v37, v16, s2, v27
	v_sub_f16_e32 v0, v1, v0
	v_sub_f16_e32 v1, v2, v3
	v_add_f16_e32 v3, v23, v18
	v_fma_f16 v37, v20, s14, v37
	v_add_f16_e32 v0, v0, v1
	v_fma_f16 v2, v16, s5, v27
	v_fma_f16 v3, v3, -0.5, v14
	v_sub_f16_e32 v16, v4, v7
	v_fma_f16 v1, v0, s4, v37
	v_fma_f16 v2, v20, s3, v2
	;; [unrolled: 1-line block ×3, first 2 shown]
	v_sub_f16_e32 v27, v5, v6
	v_sub_f16_e32 v37, v21, v23
	;; [unrolled: 1-line block ×3, first 2 shown]
	v_fma_f16 v3, v16, s5, v3
	v_fma_f16 v20, v27, s3, v20
	v_add_f16_e32 v37, v37, v38
	v_fma_f16 v3, v27, s14, v3
	v_fma_f16 v20, v37, s4, v20
	;; [unrolled: 1-line block ×3, first 2 shown]
	v_add_f16_e32 v3, v21, v25
	v_fma_f16 v3, v3, -0.5, v14
	v_lshrrev_b32_e32 v32, 16, v14
	v_fma_f16 v0, v0, s4, v2
	v_add_f16_e32 v2, v14, v21
	v_fma_f16 v14, v27, s5, v3
	v_sub_f16_e32 v38, v23, v21
	v_sub_f16_e32 v41, v18, v25
	v_fma_f16 v3, v27, s2, v3
	v_add_f16_e32 v38, v38, v41
	v_fma_f16 v3, v16, s14, v3
	v_fma_f16 v14, v16, s3, v14
	;; [unrolled: 1-line block ×3, first 2 shown]
	v_add_f16_e32 v3, v32, v4
	v_add_f16_e32 v3, v3, v5
	;; [unrolled: 1-line block ×7, first 2 shown]
	v_fma_f16 v3, v3, -0.5, v32
	v_sub_f16_e32 v21, v21, v25
	v_add_f16_e32 v2, v2, v25
	v_fma_f16 v25, v21, s5, v3
	v_sub_f16_e32 v18, v23, v18
	v_fma_f16 v14, v38, s4, v14
	v_fma_f16 v23, v18, s14, v25
	v_sub_f16_e32 v25, v4, v5
	v_sub_f16_e32 v38, v7, v6
	v_fma_f16 v3, v21, s2, v3
	v_add_f16_e32 v25, v25, v38
	v_fma_f16 v3, v18, s3, v3
	v_fma_f16 v23, v25, s4, v23
	;; [unrolled: 1-line block ×3, first 2 shown]
	v_add_f16_e32 v3, v4, v7
	v_fma_f16 v3, v3, -0.5, v32
	v_fma_f16 v32, v18, s2, v3
	v_sub_f16_e32 v4, v5, v4
	v_sub_f16_e32 v5, v6, v7
	v_fma_f16 v3, v18, s5, v3
	v_fma_f16 v32, v21, s14, v32
	v_add_f16_e32 v4, v4, v5
	v_fma_f16 v3, v21, s3, v3
	v_fma_f16 v5, v4, s4, v32
	;; [unrolled: 1-line block ×3, first 2 shown]
	v_add_f16_e32 v3, v15, v22
	v_add_f16_e32 v3, v3, v24
	;; [unrolled: 1-line block ×5, first 2 shown]
	v_fma_f16 v3, v3, -0.5, v15
	v_sub_f16_e32 v7, v8, v11
	v_fma_f16 v18, v7, s2, v3
	v_sub_f16_e32 v21, v9, v10
	v_sub_f16_e32 v32, v22, v24
	v_sub_f16_e32 v38, v26, v19
	v_fma_f16 v3, v7, s5, v3
	v_fma_f16 v18, v21, s3, v18
	v_add_f16_e32 v32, v32, v38
	v_fma_f16 v3, v21, s14, v3
	v_fma_f16 v18, v32, s4, v18
	v_fma_f16 v32, v32, s4, v3
	v_add_f16_e32 v3, v22, v26
	v_fma_f16 v3, v3, -0.5, v15
	v_lshrrev_b32_e32 v43, 16, v15
	v_fma_f16 v15, v21, s5, v3
	v_sub_f16_e32 v38, v24, v22
	v_sub_f16_e32 v41, v19, v26
	v_fma_f16 v3, v21, s2, v3
	v_add_f16_e32 v38, v38, v41
	v_fma_f16 v3, v7, s14, v3
	v_fma_f16 v15, v7, s3, v15
	;; [unrolled: 1-line block ×3, first 2 shown]
	v_add_f16_e32 v3, v43, v8
	v_add_f16_e32 v3, v3, v9
	;; [unrolled: 1-line block ×5, first 2 shown]
	v_fma_f16 v3, v3, -0.5, v43
	v_sub_f16_e32 v22, v22, v26
	v_fma_f16 v26, v22, s5, v3
	v_sub_f16_e32 v19, v24, v19
	v_fma_f16 v15, v38, s4, v15
	v_fma_f16 v24, v19, s14, v26
	v_sub_f16_e32 v26, v8, v9
	v_sub_f16_e32 v38, v11, v10
	v_fma_f16 v3, v22, s2, v3
	v_add_f16_e32 v26, v26, v38
	v_fma_f16 v3, v19, s3, v3
	v_fma_f16 v24, v26, s4, v24
	;; [unrolled: 1-line block ×3, first 2 shown]
	v_add_f16_e32 v3, v8, v11
	v_fma_f16 v3, v3, -0.5, v43
	v_fma_f16 v38, v19, s2, v3
	v_sub_f16_e32 v8, v9, v8
	v_sub_f16_e32 v9, v10, v11
	v_fma_f16 v3, v19, s5, v3
	v_fma_f16 v38, v22, s14, v38
	v_add_f16_e32 v8, v8, v9
	v_fma_f16 v3, v22, s3, v3
	v_fma_f16 v9, v8, s4, v38
	;; [unrolled: 1-line block ×3, first 2 shown]
	v_pack_b32_f16 v3, v28, v30
	ds_write_b32 v42, v3
	v_pack_b32_f16 v3, v31, v17
	v_pack_b32_f16 v1, v34, v1
	ds_write2_b32 v42, v3, v1 offset0:102 offset1:204
	v_pack_b32_f16 v0, v13, v0
	v_pack_b32_f16 v1, v29, v33
	v_add_u32_e32 v3, 0x400, v42
	ds_write2_b32 v3, v0, v1 offset0:50 offset1:152
	v_pack_b32_f16 v0, v2, v27
	v_pack_b32_f16 v1, v20, v23
	;; [unrolled: 1-line block ×3, first 2 shown]
	ds_write2_b32 v36, v1, v2 offset0:102 offset1:204
	v_pack_b32_f16 v1, v16, v4
	v_pack_b32_f16 v2, v37, v25
	v_add_u32_e32 v4, 0x400, v36
	ds_write2_b32 v4, v1, v2 offset0:50 offset1:152
	v_pack_b32_f16 v1, v6, v21
	ds_write2_b32 v42, v0, v1 offset0:34 offset1:68
	v_pack_b32_f16 v0, v18, v24
	v_pack_b32_f16 v1, v15, v9
	ds_write2_b32 v35, v0, v1 offset0:102 offset1:204
	v_pack_b32_f16 v0, v7, v8
	v_pack_b32_f16 v1, v32, v26
	v_add_u32_e32 v2, 0x400, v35
	ds_write2_b32 v2, v0, v1 offset0:50 offset1:152
	s_waitcnt lgkmcnt(0)
	s_barrier
	s_and_b64 exec, exec, s[0:1]
	s_cbranch_execz .LBB0_23
; %bb.22:
	global_load_dword v9, v40, s[6:7]
	v_mad_u64_u32 v[1:2], s[0:1], s10, v12, 0
	v_mad_u64_u32 v[4:5], s[0:1], s8, v39, 0
	;; [unrolled: 1-line block ×3, first 2 shown]
	ds_read_b32 v10, v42
	s_mov_b32 s14, 0x10101010
	v_mad_u64_u32 v[7:8], s[0:1], s9, v39, v[5:6]
	v_mov_b32_e32 v2, v6
	s_waitcnt lgkmcnt(0)
	v_lshrrev_b32_e32 v8, 16, v10
	v_mov_b32_e32 v5, v7
	s_mov_b32 s15, 0x3f601010
	v_lshlrev_b64 v[1:2], 2, v[1:2]
	v_mov_b32_e32 v11, s13
	v_lshlrev_b64 v[4:5], 2, v[4:5]
	v_add_co_u32_e32 v1, vcc, s12, v1
	v_addc_co_u32_e32 v2, vcc, v11, v2, vcc
	s_movk_i32 s16, 0x1ff
	v_add_co_u32_e32 v4, vcc, v1, v4
	v_addc_co_u32_e32 v5, vcc, v2, v5, vcc
	s_movk_i32 s10, 0xffe
	v_mov_b32_e32 v0, 0x7c00
	s_movk_i32 s18, 0x40f
	s_mov_b32 s17, 0x8000
	s_mul_hi_u32 s12, s8, 0x78
	s_mul_i32 s11, s8, 0x78
	s_waitcnt vmcnt(0)
	v_mul_f16_sdwa v6, v8, v9 dst_sel:DWORD dst_unused:UNUSED_PAD src0_sel:DWORD src1_sel:WORD_1
	v_fma_f16 v6, v10, v9, v6
	v_mul_f16_sdwa v7, v10, v9 dst_sel:DWORD dst_unused:UNUSED_PAD src0_sel:DWORD src1_sel:WORD_1
	v_cvt_f32_f16_e32 v6, v6
	v_fma_f16 v7, v9, v8, -v7
	v_cvt_f32_f16_e32 v8, v7
	v_cvt_f64_f32_e32 v[6:7], v6
	v_cvt_f64_f32_e32 v[8:9], v8
	v_mul_f64 v[6:7], v[6:7], s[14:15]
	v_mul_f64 v[8:9], v[8:9], s[14:15]
	v_and_or_b32 v6, v7, s16, v6
	v_cmp_ne_u32_e32 vcc, 0, v6
	v_and_or_b32 v8, v9, s16, v8
	v_lshrrev_b32_e32 v10, 8, v7
	v_bfe_u32 v11, v7, 20, 11
	v_cndmask_b32_e64 v6, 0, 1, vcc
	v_cmp_ne_u32_e32 vcc, 0, v8
	v_lshrrev_b32_e32 v12, 8, v9
	v_bfe_u32 v13, v9, 20, 11
	v_sub_u32_e32 v14, 0x3f1, v11
	v_cndmask_b32_e64 v8, 0, 1, vcc
	v_and_or_b32 v6, v10, s10, v6
	v_sub_u32_e32 v15, 0x3f1, v13
	v_med3_i32 v10, v14, 0, 13
	v_and_or_b32 v8, v12, s10, v8
	v_or_b32_e32 v14, 0x1000, v6
	v_add_u32_e32 v11, 0xfffffc10, v11
	v_med3_i32 v12, v15, 0, 13
	v_cmp_ne_u32_e32 vcc, 0, v6
	v_or_b32_e32 v16, 0x1000, v8
	v_lshrrev_b32_e32 v18, v10, v14
	v_add_u32_e32 v13, 0xfffffc10, v13
	v_lshl_or_b32 v15, v11, 12, v6
	v_cndmask_b32_e64 v6, 0, 1, vcc
	v_cmp_ne_u32_e32 vcc, 0, v8
	v_lshrrev_b32_e32 v19, v12, v16
	v_lshlrev_b32_e32 v10, v10, v18
	v_lshl_or_b32 v17, v13, 12, v8
	v_cndmask_b32_e64 v8, 0, 1, vcc
	v_lshlrev_b32_e32 v12, v12, v19
	v_cmp_ne_u32_e32 vcc, v10, v14
	v_cndmask_b32_e64 v10, 0, 1, vcc
	v_cmp_ne_u32_e32 vcc, v12, v16
	v_cndmask_b32_e64 v12, 0, 1, vcc
	v_or_b32_e32 v10, v18, v10
	v_cmp_gt_i32_e32 vcc, 1, v11
	v_cndmask_b32_e32 v10, v15, v10, vcc
	v_or_b32_e32 v12, v19, v12
	v_cmp_gt_i32_e32 vcc, 1, v13
	v_and_b32_e32 v14, 7, v10
	v_cndmask_b32_e32 v12, v17, v12, vcc
	v_cmp_lt_i32_e32 vcc, 5, v14
	v_cmp_eq_u32_e64 s[0:1], 3, v14
	v_lshrrev_b32_e32 v10, 2, v10
	v_and_b32_e32 v15, 7, v12
	s_or_b64 vcc, s[0:1], vcc
	v_cmp_lt_i32_e64 s[2:3], 5, v15
	v_cmp_eq_u32_e64 s[4:5], 3, v15
	v_addc_co_u32_e32 v10, vcc, 0, v10, vcc
	v_lshrrev_b32_e32 v12, 2, v12
	s_or_b64 vcc, s[4:5], s[2:3]
	v_addc_co_u32_e32 v12, vcc, 0, v12, vcc
	v_cmp_gt_i32_e32 vcc, 31, v11
	v_cndmask_b32_e32 v10, v0, v10, vcc
	v_cmp_gt_i32_e32 vcc, 31, v13
	v_lshl_or_b32 v6, v6, 9, v0
	v_cndmask_b32_e32 v12, v0, v12, vcc
	v_cmp_eq_u32_e32 vcc, s18, v11
	v_lshrrev_b32_e32 v7, 16, v7
	v_lshl_or_b32 v8, v8, 9, v0
	v_cndmask_b32_e32 v6, v10, v6, vcc
	v_cmp_eq_u32_e32 vcc, s18, v13
	v_lshrrev_b32_e32 v9, 16, v9
	v_cndmask_b32_e32 v8, v12, v8, vcc
	v_and_or_b32 v6, v7, s17, v6
	v_and_or_b32 v7, v9, s17, v8
	v_and_b32_e32 v6, 0xffff, v6
	v_lshl_or_b32 v6, v7, 16, v6
	global_store_dword v[4:5], v6, off
	global_load_dword v8, v40, s[6:7] offset:120
	ds_read2_b32 v[6:7], v42 offset0:30 offset1:60
	s_mul_i32 s0, s9, 0x78
	s_add_i32 s12, s12, s0
	v_add_co_u32_e32 v4, vcc, s11, v4
	s_waitcnt lgkmcnt(0)
	v_lshrrev_b32_e32 v9, 16, v6
	s_waitcnt vmcnt(0)
	v_mul_f16_sdwa v10, v9, v8 dst_sel:DWORD dst_unused:UNUSED_PAD src0_sel:DWORD src1_sel:WORD_1
	v_fma_f16 v10, v6, v8, v10
	v_mul_f16_sdwa v6, v6, v8 dst_sel:DWORD dst_unused:UNUSED_PAD src0_sel:DWORD src1_sel:WORD_1
	v_cvt_f32_f16_e32 v10, v10
	v_fma_f16 v6, v8, v9, -v6
	v_cvt_f32_f16_e32 v6, v6
	v_cvt_f64_f32_e32 v[8:9], v10
	v_cvt_f64_f32_e32 v[10:11], v6
	v_mov_b32_e32 v6, s12
	v_mul_f64 v[8:9], v[8:9], s[14:15]
	v_addc_co_u32_e32 v5, vcc, v5, v6, vcc
	v_mul_f64 v[10:11], v[10:11], s[14:15]
	v_and_or_b32 v6, v9, s16, v8
	v_cmp_ne_u32_e32 vcc, 0, v6
	v_lshrrev_b32_e32 v8, 8, v9
	v_and_or_b32 v10, v11, s16, v10
	v_bfe_u32 v12, v9, 20, 11
	v_cndmask_b32_e64 v6, 0, 1, vcc
	v_cmp_ne_u32_e32 vcc, 0, v10
	v_lshrrev_b32_e32 v13, 8, v11
	v_bfe_u32 v14, v11, 20, 11
	v_sub_u32_e32 v15, 0x3f1, v12
	v_cndmask_b32_e64 v10, 0, 1, vcc
	v_and_or_b32 v6, v8, s10, v6
	v_sub_u32_e32 v16, 0x3f1, v14
	v_med3_i32 v8, v15, 0, 13
	v_and_or_b32 v10, v13, s10, v10
	v_or_b32_e32 v15, 0x1000, v6
	v_add_u32_e32 v12, 0xfffffc10, v12
	v_med3_i32 v13, v16, 0, 13
	v_cmp_ne_u32_e32 vcc, 0, v6
	v_or_b32_e32 v17, 0x1000, v10
	v_lshrrev_b32_e32 v19, v8, v15
	v_add_u32_e32 v14, 0xfffffc10, v14
	v_lshl_or_b32 v16, v12, 12, v6
	v_cndmask_b32_e64 v6, 0, 1, vcc
	v_cmp_ne_u32_e32 vcc, 0, v10
	v_lshrrev_b32_e32 v20, v13, v17
	v_lshlrev_b32_e32 v8, v8, v19
	v_lshl_or_b32 v18, v14, 12, v10
	v_cndmask_b32_e64 v10, 0, 1, vcc
	v_lshlrev_b32_e32 v13, v13, v20
	v_cmp_ne_u32_e32 vcc, v8, v15
	v_cndmask_b32_e64 v8, 0, 1, vcc
	v_cmp_ne_u32_e32 vcc, v13, v17
	v_cndmask_b32_e64 v13, 0, 1, vcc
	v_or_b32_e32 v8, v19, v8
	v_cmp_gt_i32_e32 vcc, 1, v12
	v_cndmask_b32_e32 v8, v16, v8, vcc
	v_or_b32_e32 v13, v20, v13
	v_cmp_gt_i32_e32 vcc, 1, v14
	v_and_b32_e32 v15, 7, v8
	v_cndmask_b32_e32 v13, v18, v13, vcc
	v_cmp_lt_i32_e32 vcc, 5, v15
	v_cmp_eq_u32_e64 s[0:1], 3, v15
	v_lshrrev_b32_e32 v8, 2, v8
	v_and_b32_e32 v16, 7, v13
	s_or_b64 vcc, s[0:1], vcc
	v_cmp_lt_i32_e64 s[2:3], 5, v16
	v_cmp_eq_u32_e64 s[4:5], 3, v16
	v_addc_co_u32_e32 v8, vcc, 0, v8, vcc
	v_lshrrev_b32_e32 v13, 2, v13
	s_or_b64 vcc, s[4:5], s[2:3]
	v_addc_co_u32_e32 v13, vcc, 0, v13, vcc
	v_cmp_gt_i32_e32 vcc, 31, v12
	v_cndmask_b32_e32 v8, v0, v8, vcc
	v_cmp_gt_i32_e32 vcc, 31, v14
	v_lshl_or_b32 v6, v6, 9, v0
	v_cndmask_b32_e32 v13, v0, v13, vcc
	v_cmp_eq_u32_e32 vcc, s18, v12
	v_lshrrev_b32_e32 v9, 16, v9
	v_lshl_or_b32 v10, v10, 9, v0
	v_cndmask_b32_e32 v6, v8, v6, vcc
	v_cmp_eq_u32_e32 vcc, s18, v14
	v_lshrrev_b32_e32 v11, 16, v11
	v_cndmask_b32_e32 v8, v13, v10, vcc
	v_and_or_b32 v6, v9, s17, v6
	v_and_or_b32 v8, v11, s17, v8
	v_and_b32_e32 v6, 0xffff, v6
	v_lshl_or_b32 v6, v8, 16, v6
	global_store_dword v[4:5], v6, off
	global_load_dword v6, v40, s[6:7] offset:240
	v_lshrrev_b32_e32 v8, 16, v7
	v_mov_b32_e32 v10, s12
	v_add_co_u32_e32 v4, vcc, s11, v4
	v_addc_co_u32_e32 v5, vcc, v5, v10, vcc
	s_waitcnt vmcnt(0)
	v_mul_f16_sdwa v9, v8, v6 dst_sel:DWORD dst_unused:UNUSED_PAD src0_sel:DWORD src1_sel:WORD_1
	v_fma_f16 v9, v7, v6, v9
	v_mul_f16_sdwa v7, v7, v6 dst_sel:DWORD dst_unused:UNUSED_PAD src0_sel:DWORD src1_sel:WORD_1
	v_cvt_f32_f16_e32 v9, v9
	v_fma_f16 v6, v6, v8, -v7
	v_cvt_f32_f16_e32 v8, v6
	v_cvt_f64_f32_e32 v[6:7], v9
	v_cvt_f64_f32_e32 v[8:9], v8
	v_mul_f64 v[6:7], v[6:7], s[14:15]
	v_mul_f64 v[8:9], v[8:9], s[14:15]
	v_and_or_b32 v6, v7, s16, v6
	v_cmp_ne_u32_e32 vcc, 0, v6
	v_and_or_b32 v8, v9, s16, v8
	v_lshrrev_b32_e32 v10, 8, v7
	v_bfe_u32 v11, v7, 20, 11
	v_cndmask_b32_e64 v6, 0, 1, vcc
	v_cmp_ne_u32_e32 vcc, 0, v8
	v_lshrrev_b32_e32 v12, 8, v9
	v_bfe_u32 v13, v9, 20, 11
	v_sub_u32_e32 v14, 0x3f1, v11
	v_cndmask_b32_e64 v8, 0, 1, vcc
	v_and_or_b32 v6, v10, s10, v6
	v_sub_u32_e32 v15, 0x3f1, v13
	v_med3_i32 v10, v14, 0, 13
	v_and_or_b32 v8, v12, s10, v8
	v_or_b32_e32 v14, 0x1000, v6
	v_add_u32_e32 v11, 0xfffffc10, v11
	v_med3_i32 v12, v15, 0, 13
	v_cmp_ne_u32_e32 vcc, 0, v6
	v_or_b32_e32 v16, 0x1000, v8
	v_lshrrev_b32_e32 v18, v10, v14
	v_add_u32_e32 v13, 0xfffffc10, v13
	v_lshl_or_b32 v15, v11, 12, v6
	v_cndmask_b32_e64 v6, 0, 1, vcc
	v_cmp_ne_u32_e32 vcc, 0, v8
	v_lshrrev_b32_e32 v19, v12, v16
	v_lshlrev_b32_e32 v10, v10, v18
	v_lshl_or_b32 v17, v13, 12, v8
	v_cndmask_b32_e64 v8, 0, 1, vcc
	v_lshlrev_b32_e32 v12, v12, v19
	v_cmp_ne_u32_e32 vcc, v10, v14
	v_cndmask_b32_e64 v10, 0, 1, vcc
	v_cmp_ne_u32_e32 vcc, v12, v16
	v_cndmask_b32_e64 v12, 0, 1, vcc
	v_or_b32_e32 v10, v18, v10
	v_cmp_gt_i32_e32 vcc, 1, v11
	v_cndmask_b32_e32 v10, v15, v10, vcc
	v_or_b32_e32 v12, v19, v12
	v_cmp_gt_i32_e32 vcc, 1, v13
	v_and_b32_e32 v14, 7, v10
	v_cndmask_b32_e32 v12, v17, v12, vcc
	v_cmp_lt_i32_e32 vcc, 5, v14
	v_cmp_eq_u32_e64 s[0:1], 3, v14
	v_lshrrev_b32_e32 v10, 2, v10
	v_and_b32_e32 v15, 7, v12
	s_or_b64 vcc, s[0:1], vcc
	v_cmp_lt_i32_e64 s[2:3], 5, v15
	v_cmp_eq_u32_e64 s[4:5], 3, v15
	v_addc_co_u32_e32 v10, vcc, 0, v10, vcc
	v_lshrrev_b32_e32 v12, 2, v12
	s_or_b64 vcc, s[4:5], s[2:3]
	v_addc_co_u32_e32 v12, vcc, 0, v12, vcc
	v_cmp_gt_i32_e32 vcc, 31, v11
	v_cndmask_b32_e32 v10, v0, v10, vcc
	v_cmp_gt_i32_e32 vcc, 31, v13
	v_lshl_or_b32 v6, v6, 9, v0
	v_cndmask_b32_e32 v12, v0, v12, vcc
	v_cmp_eq_u32_e32 vcc, s18, v11
	v_lshrrev_b32_e32 v7, 16, v7
	v_lshl_or_b32 v8, v8, 9, v0
	v_cndmask_b32_e32 v6, v10, v6, vcc
	v_cmp_eq_u32_e32 vcc, s18, v13
	v_lshrrev_b32_e32 v9, 16, v9
	v_cndmask_b32_e32 v8, v12, v8, vcc
	v_and_or_b32 v6, v7, s17, v6
	v_and_or_b32 v7, v9, s17, v8
	v_and_b32_e32 v6, 0xffff, v6
	v_lshl_or_b32 v6, v7, 16, v6
	global_store_dword v[4:5], v6, off
	global_load_dword v8, v40, s[6:7] offset:360
	ds_read2_b32 v[6:7], v42 offset0:90 offset1:120
	v_add_co_u32_e32 v4, vcc, s11, v4
	s_waitcnt lgkmcnt(0)
	v_lshrrev_b32_e32 v9, 16, v6
	s_waitcnt vmcnt(0)
	v_mul_f16_sdwa v10, v9, v8 dst_sel:DWORD dst_unused:UNUSED_PAD src0_sel:DWORD src1_sel:WORD_1
	v_fma_f16 v10, v6, v8, v10
	v_mul_f16_sdwa v6, v6, v8 dst_sel:DWORD dst_unused:UNUSED_PAD src0_sel:DWORD src1_sel:WORD_1
	v_cvt_f32_f16_e32 v10, v10
	v_fma_f16 v6, v8, v9, -v6
	v_cvt_f32_f16_e32 v6, v6
	v_cvt_f64_f32_e32 v[8:9], v10
	v_cvt_f64_f32_e32 v[10:11], v6
	v_mov_b32_e32 v6, s12
	v_mul_f64 v[8:9], v[8:9], s[14:15]
	v_addc_co_u32_e32 v5, vcc, v5, v6, vcc
	v_mul_f64 v[10:11], v[10:11], s[14:15]
	v_and_or_b32 v6, v9, s16, v8
	v_cmp_ne_u32_e32 vcc, 0, v6
	v_lshrrev_b32_e32 v8, 8, v9
	v_and_or_b32 v10, v11, s16, v10
	v_bfe_u32 v12, v9, 20, 11
	v_cndmask_b32_e64 v6, 0, 1, vcc
	v_cmp_ne_u32_e32 vcc, 0, v10
	v_lshrrev_b32_e32 v13, 8, v11
	v_bfe_u32 v14, v11, 20, 11
	v_sub_u32_e32 v15, 0x3f1, v12
	v_cndmask_b32_e64 v10, 0, 1, vcc
	v_and_or_b32 v6, v8, s10, v6
	v_sub_u32_e32 v16, 0x3f1, v14
	v_med3_i32 v8, v15, 0, 13
	v_and_or_b32 v10, v13, s10, v10
	v_or_b32_e32 v15, 0x1000, v6
	v_add_u32_e32 v12, 0xfffffc10, v12
	v_med3_i32 v13, v16, 0, 13
	v_cmp_ne_u32_e32 vcc, 0, v6
	v_or_b32_e32 v17, 0x1000, v10
	v_lshrrev_b32_e32 v19, v8, v15
	v_add_u32_e32 v14, 0xfffffc10, v14
	v_lshl_or_b32 v16, v12, 12, v6
	v_cndmask_b32_e64 v6, 0, 1, vcc
	v_cmp_ne_u32_e32 vcc, 0, v10
	v_lshrrev_b32_e32 v20, v13, v17
	v_lshlrev_b32_e32 v8, v8, v19
	v_lshl_or_b32 v18, v14, 12, v10
	v_cndmask_b32_e64 v10, 0, 1, vcc
	v_lshlrev_b32_e32 v13, v13, v20
	v_cmp_ne_u32_e32 vcc, v8, v15
	v_cndmask_b32_e64 v8, 0, 1, vcc
	v_cmp_ne_u32_e32 vcc, v13, v17
	v_cndmask_b32_e64 v13, 0, 1, vcc
	v_or_b32_e32 v8, v19, v8
	v_cmp_gt_i32_e32 vcc, 1, v12
	v_cndmask_b32_e32 v8, v16, v8, vcc
	v_or_b32_e32 v13, v20, v13
	v_cmp_gt_i32_e32 vcc, 1, v14
	v_and_b32_e32 v15, 7, v8
	v_cndmask_b32_e32 v13, v18, v13, vcc
	v_cmp_lt_i32_e32 vcc, 5, v15
	v_cmp_eq_u32_e64 s[0:1], 3, v15
	v_lshrrev_b32_e32 v8, 2, v8
	v_and_b32_e32 v16, 7, v13
	s_or_b64 vcc, s[0:1], vcc
	v_cmp_lt_i32_e64 s[2:3], 5, v16
	v_cmp_eq_u32_e64 s[4:5], 3, v16
	v_addc_co_u32_e32 v8, vcc, 0, v8, vcc
	v_lshrrev_b32_e32 v13, 2, v13
	s_or_b64 vcc, s[4:5], s[2:3]
	v_addc_co_u32_e32 v13, vcc, 0, v13, vcc
	v_cmp_gt_i32_e32 vcc, 31, v12
	v_cndmask_b32_e32 v8, v0, v8, vcc
	v_cmp_gt_i32_e32 vcc, 31, v14
	v_lshl_or_b32 v6, v6, 9, v0
	v_cndmask_b32_e32 v13, v0, v13, vcc
	v_cmp_eq_u32_e32 vcc, s18, v12
	v_lshrrev_b32_e32 v9, 16, v9
	v_lshl_or_b32 v10, v10, 9, v0
	v_cndmask_b32_e32 v6, v8, v6, vcc
	v_cmp_eq_u32_e32 vcc, s18, v14
	v_lshrrev_b32_e32 v11, 16, v11
	v_cndmask_b32_e32 v8, v13, v10, vcc
	v_and_or_b32 v6, v9, s17, v6
	v_and_or_b32 v8, v11, s17, v8
	v_and_b32_e32 v6, 0xffff, v6
	v_lshl_or_b32 v6, v8, 16, v6
	global_store_dword v[4:5], v6, off
	global_load_dword v6, v40, s[6:7] offset:480
	v_lshrrev_b32_e32 v8, 16, v7
	v_mov_b32_e32 v10, s12
	v_add_co_u32_e32 v4, vcc, s11, v4
	v_addc_co_u32_e32 v5, vcc, v5, v10, vcc
	s_waitcnt vmcnt(0)
	v_mul_f16_sdwa v9, v8, v6 dst_sel:DWORD dst_unused:UNUSED_PAD src0_sel:DWORD src1_sel:WORD_1
	v_fma_f16 v9, v7, v6, v9
	v_mul_f16_sdwa v7, v7, v6 dst_sel:DWORD dst_unused:UNUSED_PAD src0_sel:DWORD src1_sel:WORD_1
	v_cvt_f32_f16_e32 v9, v9
	v_fma_f16 v6, v6, v8, -v7
	v_cvt_f32_f16_e32 v8, v6
	v_cvt_f64_f32_e32 v[6:7], v9
	v_cvt_f64_f32_e32 v[8:9], v8
	v_mul_f64 v[6:7], v[6:7], s[14:15]
	v_mul_f64 v[8:9], v[8:9], s[14:15]
	v_and_or_b32 v6, v7, s16, v6
	v_cmp_ne_u32_e32 vcc, 0, v6
	v_and_or_b32 v8, v9, s16, v8
	v_lshrrev_b32_e32 v10, 8, v7
	v_bfe_u32 v11, v7, 20, 11
	v_cndmask_b32_e64 v6, 0, 1, vcc
	v_cmp_ne_u32_e32 vcc, 0, v8
	v_lshrrev_b32_e32 v12, 8, v9
	v_bfe_u32 v13, v9, 20, 11
	v_sub_u32_e32 v14, 0x3f1, v11
	v_cndmask_b32_e64 v8, 0, 1, vcc
	v_and_or_b32 v6, v10, s10, v6
	v_sub_u32_e32 v15, 0x3f1, v13
	v_med3_i32 v10, v14, 0, 13
	v_and_or_b32 v8, v12, s10, v8
	v_or_b32_e32 v14, 0x1000, v6
	v_add_u32_e32 v11, 0xfffffc10, v11
	v_med3_i32 v12, v15, 0, 13
	v_cmp_ne_u32_e32 vcc, 0, v6
	v_or_b32_e32 v16, 0x1000, v8
	v_lshrrev_b32_e32 v18, v10, v14
	v_add_u32_e32 v13, 0xfffffc10, v13
	v_lshl_or_b32 v15, v11, 12, v6
	v_cndmask_b32_e64 v6, 0, 1, vcc
	v_cmp_ne_u32_e32 vcc, 0, v8
	v_lshrrev_b32_e32 v19, v12, v16
	v_lshlrev_b32_e32 v10, v10, v18
	v_lshl_or_b32 v17, v13, 12, v8
	v_cndmask_b32_e64 v8, 0, 1, vcc
	v_lshlrev_b32_e32 v12, v12, v19
	v_cmp_ne_u32_e32 vcc, v10, v14
	v_cndmask_b32_e64 v10, 0, 1, vcc
	v_cmp_ne_u32_e32 vcc, v12, v16
	v_cndmask_b32_e64 v12, 0, 1, vcc
	v_or_b32_e32 v10, v18, v10
	v_cmp_gt_i32_e32 vcc, 1, v11
	v_cndmask_b32_e32 v10, v15, v10, vcc
	v_or_b32_e32 v12, v19, v12
	v_cmp_gt_i32_e32 vcc, 1, v13
	v_and_b32_e32 v14, 7, v10
	v_cndmask_b32_e32 v12, v17, v12, vcc
	v_cmp_lt_i32_e32 vcc, 5, v14
	v_cmp_eq_u32_e64 s[0:1], 3, v14
	v_lshrrev_b32_e32 v10, 2, v10
	v_and_b32_e32 v15, 7, v12
	s_or_b64 vcc, s[0:1], vcc
	v_cmp_lt_i32_e64 s[2:3], 5, v15
	v_cmp_eq_u32_e64 s[4:5], 3, v15
	v_addc_co_u32_e32 v10, vcc, 0, v10, vcc
	v_lshrrev_b32_e32 v12, 2, v12
	s_or_b64 vcc, s[4:5], s[2:3]
	v_addc_co_u32_e32 v12, vcc, 0, v12, vcc
	v_cmp_gt_i32_e32 vcc, 31, v11
	v_cndmask_b32_e32 v10, v0, v10, vcc
	v_cmp_gt_i32_e32 vcc, 31, v13
	v_lshl_or_b32 v6, v6, 9, v0
	v_cndmask_b32_e32 v12, v0, v12, vcc
	v_cmp_eq_u32_e32 vcc, s18, v11
	v_lshrrev_b32_e32 v7, 16, v7
	v_lshl_or_b32 v8, v8, 9, v0
	v_cndmask_b32_e32 v6, v10, v6, vcc
	v_cmp_eq_u32_e32 vcc, s18, v13
	v_lshrrev_b32_e32 v9, 16, v9
	v_cndmask_b32_e32 v8, v12, v8, vcc
	v_and_or_b32 v6, v7, s17, v6
	v_and_or_b32 v7, v9, s17, v8
	v_and_b32_e32 v6, 0xffff, v6
	v_lshl_or_b32 v6, v7, 16, v6
	global_store_dword v[4:5], v6, off
	global_load_dword v8, v40, s[6:7] offset:600
	ds_read2_b32 v[6:7], v42 offset0:150 offset1:180
	v_add_co_u32_e32 v4, vcc, s11, v4
	s_waitcnt lgkmcnt(0)
	v_lshrrev_b32_e32 v9, 16, v6
	s_waitcnt vmcnt(0)
	v_mul_f16_sdwa v10, v9, v8 dst_sel:DWORD dst_unused:UNUSED_PAD src0_sel:DWORD src1_sel:WORD_1
	v_fma_f16 v10, v6, v8, v10
	v_mul_f16_sdwa v6, v6, v8 dst_sel:DWORD dst_unused:UNUSED_PAD src0_sel:DWORD src1_sel:WORD_1
	v_cvt_f32_f16_e32 v10, v10
	v_fma_f16 v6, v8, v9, -v6
	v_cvt_f32_f16_e32 v6, v6
	v_cvt_f64_f32_e32 v[8:9], v10
	v_cvt_f64_f32_e32 v[10:11], v6
	v_mov_b32_e32 v6, s12
	v_mul_f64 v[8:9], v[8:9], s[14:15]
	v_addc_co_u32_e32 v5, vcc, v5, v6, vcc
	v_mul_f64 v[10:11], v[10:11], s[14:15]
	v_and_or_b32 v6, v9, s16, v8
	v_cmp_ne_u32_e32 vcc, 0, v6
	v_lshrrev_b32_e32 v8, 8, v9
	v_and_or_b32 v10, v11, s16, v10
	v_bfe_u32 v12, v9, 20, 11
	v_cndmask_b32_e64 v6, 0, 1, vcc
	v_cmp_ne_u32_e32 vcc, 0, v10
	v_lshrrev_b32_e32 v13, 8, v11
	v_bfe_u32 v14, v11, 20, 11
	v_sub_u32_e32 v15, 0x3f1, v12
	v_cndmask_b32_e64 v10, 0, 1, vcc
	v_and_or_b32 v6, v8, s10, v6
	v_sub_u32_e32 v16, 0x3f1, v14
	v_med3_i32 v8, v15, 0, 13
	v_and_or_b32 v10, v13, s10, v10
	v_or_b32_e32 v15, 0x1000, v6
	v_add_u32_e32 v12, 0xfffffc10, v12
	v_med3_i32 v13, v16, 0, 13
	v_cmp_ne_u32_e32 vcc, 0, v6
	v_or_b32_e32 v17, 0x1000, v10
	v_lshrrev_b32_e32 v19, v8, v15
	v_add_u32_e32 v14, 0xfffffc10, v14
	v_lshl_or_b32 v16, v12, 12, v6
	v_cndmask_b32_e64 v6, 0, 1, vcc
	v_cmp_ne_u32_e32 vcc, 0, v10
	v_lshrrev_b32_e32 v20, v13, v17
	v_lshlrev_b32_e32 v8, v8, v19
	v_lshl_or_b32 v18, v14, 12, v10
	v_cndmask_b32_e64 v10, 0, 1, vcc
	v_lshlrev_b32_e32 v13, v13, v20
	v_cmp_ne_u32_e32 vcc, v8, v15
	v_cndmask_b32_e64 v8, 0, 1, vcc
	v_cmp_ne_u32_e32 vcc, v13, v17
	v_cndmask_b32_e64 v13, 0, 1, vcc
	v_or_b32_e32 v8, v19, v8
	v_cmp_gt_i32_e32 vcc, 1, v12
	v_cndmask_b32_e32 v8, v16, v8, vcc
	v_or_b32_e32 v13, v20, v13
	v_cmp_gt_i32_e32 vcc, 1, v14
	v_and_b32_e32 v15, 7, v8
	v_cndmask_b32_e32 v13, v18, v13, vcc
	v_cmp_lt_i32_e32 vcc, 5, v15
	v_cmp_eq_u32_e64 s[0:1], 3, v15
	v_lshrrev_b32_e32 v8, 2, v8
	v_and_b32_e32 v16, 7, v13
	s_or_b64 vcc, s[0:1], vcc
	v_cmp_lt_i32_e64 s[2:3], 5, v16
	v_cmp_eq_u32_e64 s[4:5], 3, v16
	v_addc_co_u32_e32 v8, vcc, 0, v8, vcc
	v_lshrrev_b32_e32 v13, 2, v13
	s_or_b64 vcc, s[4:5], s[2:3]
	v_addc_co_u32_e32 v13, vcc, 0, v13, vcc
	v_cmp_gt_i32_e32 vcc, 31, v12
	v_cndmask_b32_e32 v8, v0, v8, vcc
	v_cmp_gt_i32_e32 vcc, 31, v14
	v_lshl_or_b32 v6, v6, 9, v0
	v_cndmask_b32_e32 v13, v0, v13, vcc
	v_cmp_eq_u32_e32 vcc, s18, v12
	v_lshrrev_b32_e32 v9, 16, v9
	v_lshl_or_b32 v10, v10, 9, v0
	v_cndmask_b32_e32 v6, v8, v6, vcc
	v_cmp_eq_u32_e32 vcc, s18, v14
	v_lshrrev_b32_e32 v11, 16, v11
	v_cndmask_b32_e32 v8, v13, v10, vcc
	v_and_or_b32 v6, v9, s17, v6
	v_and_or_b32 v8, v11, s17, v8
	v_and_b32_e32 v6, 0xffff, v6
	v_lshl_or_b32 v6, v8, 16, v6
	global_store_dword v[4:5], v6, off
	global_load_dword v6, v40, s[6:7] offset:720
	v_lshrrev_b32_e32 v8, 16, v7
	v_mov_b32_e32 v10, s12
	v_add_co_u32_e32 v4, vcc, s11, v4
	v_addc_co_u32_e32 v5, vcc, v5, v10, vcc
	s_waitcnt vmcnt(0)
	v_mul_f16_sdwa v9, v8, v6 dst_sel:DWORD dst_unused:UNUSED_PAD src0_sel:DWORD src1_sel:WORD_1
	v_fma_f16 v9, v7, v6, v9
	v_mul_f16_sdwa v7, v7, v6 dst_sel:DWORD dst_unused:UNUSED_PAD src0_sel:DWORD src1_sel:WORD_1
	v_cvt_f32_f16_e32 v9, v9
	v_fma_f16 v6, v6, v8, -v7
	v_cvt_f32_f16_e32 v8, v6
	v_cvt_f64_f32_e32 v[6:7], v9
	v_cvt_f64_f32_e32 v[8:9], v8
	v_mul_f64 v[6:7], v[6:7], s[14:15]
	v_mul_f64 v[8:9], v[8:9], s[14:15]
	v_and_or_b32 v6, v7, s16, v6
	v_cmp_ne_u32_e32 vcc, 0, v6
	v_and_or_b32 v8, v9, s16, v8
	v_lshrrev_b32_e32 v10, 8, v7
	v_bfe_u32 v11, v7, 20, 11
	v_cndmask_b32_e64 v6, 0, 1, vcc
	v_cmp_ne_u32_e32 vcc, 0, v8
	v_lshrrev_b32_e32 v12, 8, v9
	v_bfe_u32 v13, v9, 20, 11
	v_sub_u32_e32 v14, 0x3f1, v11
	v_cndmask_b32_e64 v8, 0, 1, vcc
	v_and_or_b32 v6, v10, s10, v6
	v_sub_u32_e32 v15, 0x3f1, v13
	v_med3_i32 v10, v14, 0, 13
	v_and_or_b32 v8, v12, s10, v8
	v_or_b32_e32 v14, 0x1000, v6
	v_add_u32_e32 v11, 0xfffffc10, v11
	v_med3_i32 v12, v15, 0, 13
	v_cmp_ne_u32_e32 vcc, 0, v6
	v_or_b32_e32 v16, 0x1000, v8
	v_lshrrev_b32_e32 v18, v10, v14
	v_add_u32_e32 v13, 0xfffffc10, v13
	v_lshl_or_b32 v15, v11, 12, v6
	v_cndmask_b32_e64 v6, 0, 1, vcc
	v_cmp_ne_u32_e32 vcc, 0, v8
	v_lshrrev_b32_e32 v19, v12, v16
	v_lshlrev_b32_e32 v10, v10, v18
	v_lshl_or_b32 v17, v13, 12, v8
	v_cndmask_b32_e64 v8, 0, 1, vcc
	v_lshlrev_b32_e32 v12, v12, v19
	v_cmp_ne_u32_e32 vcc, v10, v14
	v_cndmask_b32_e64 v10, 0, 1, vcc
	v_cmp_ne_u32_e32 vcc, v12, v16
	v_cndmask_b32_e64 v12, 0, 1, vcc
	v_or_b32_e32 v10, v18, v10
	v_cmp_gt_i32_e32 vcc, 1, v11
	v_cndmask_b32_e32 v10, v15, v10, vcc
	v_or_b32_e32 v12, v19, v12
	v_cmp_gt_i32_e32 vcc, 1, v13
	v_and_b32_e32 v14, 7, v10
	v_cndmask_b32_e32 v12, v17, v12, vcc
	v_cmp_lt_i32_e32 vcc, 5, v14
	v_cmp_eq_u32_e64 s[0:1], 3, v14
	v_lshrrev_b32_e32 v10, 2, v10
	v_and_b32_e32 v15, 7, v12
	s_or_b64 vcc, s[0:1], vcc
	v_cmp_lt_i32_e64 s[2:3], 5, v15
	v_cmp_eq_u32_e64 s[4:5], 3, v15
	v_addc_co_u32_e32 v10, vcc, 0, v10, vcc
	v_lshrrev_b32_e32 v12, 2, v12
	s_or_b64 vcc, s[4:5], s[2:3]
	v_addc_co_u32_e32 v12, vcc, 0, v12, vcc
	v_cmp_gt_i32_e32 vcc, 31, v11
	v_cndmask_b32_e32 v10, v0, v10, vcc
	v_cmp_gt_i32_e32 vcc, 31, v13
	v_lshl_or_b32 v6, v6, 9, v0
	v_cndmask_b32_e32 v12, v0, v12, vcc
	v_cmp_eq_u32_e32 vcc, s18, v11
	v_lshrrev_b32_e32 v7, 16, v7
	v_lshl_or_b32 v8, v8, 9, v0
	v_cndmask_b32_e32 v6, v10, v6, vcc
	v_cmp_eq_u32_e32 vcc, s18, v13
	v_lshrrev_b32_e32 v9, 16, v9
	v_cndmask_b32_e32 v8, v12, v8, vcc
	v_and_or_b32 v6, v7, s17, v6
	v_and_or_b32 v7, v9, s17, v8
	v_and_b32_e32 v6, 0xffff, v6
	v_lshl_or_b32 v6, v7, 16, v6
	global_store_dword v[4:5], v6, off
	global_load_dword v8, v40, s[6:7] offset:840
	ds_read2_b32 v[6:7], v42 offset0:210 offset1:240
	v_add_co_u32_e32 v4, vcc, s11, v4
	s_waitcnt lgkmcnt(0)
	v_lshrrev_b32_e32 v9, 16, v6
	s_waitcnt vmcnt(0)
	v_mul_f16_sdwa v10, v9, v8 dst_sel:DWORD dst_unused:UNUSED_PAD src0_sel:DWORD src1_sel:WORD_1
	v_fma_f16 v10, v6, v8, v10
	v_mul_f16_sdwa v6, v6, v8 dst_sel:DWORD dst_unused:UNUSED_PAD src0_sel:DWORD src1_sel:WORD_1
	v_cvt_f32_f16_e32 v10, v10
	v_fma_f16 v6, v8, v9, -v6
	v_cvt_f32_f16_e32 v6, v6
	v_cvt_f64_f32_e32 v[8:9], v10
	v_cvt_f64_f32_e32 v[10:11], v6
	v_mov_b32_e32 v6, s12
	v_mul_f64 v[8:9], v[8:9], s[14:15]
	v_addc_co_u32_e32 v5, vcc, v5, v6, vcc
	v_mul_f64 v[10:11], v[10:11], s[14:15]
	v_and_or_b32 v6, v9, s16, v8
	v_cmp_ne_u32_e32 vcc, 0, v6
	v_lshrrev_b32_e32 v8, 8, v9
	v_and_or_b32 v10, v11, s16, v10
	v_bfe_u32 v12, v9, 20, 11
	v_cndmask_b32_e64 v6, 0, 1, vcc
	v_cmp_ne_u32_e32 vcc, 0, v10
	v_lshrrev_b32_e32 v13, 8, v11
	v_bfe_u32 v14, v11, 20, 11
	v_sub_u32_e32 v15, 0x3f1, v12
	v_cndmask_b32_e64 v10, 0, 1, vcc
	v_and_or_b32 v6, v8, s10, v6
	v_sub_u32_e32 v16, 0x3f1, v14
	v_med3_i32 v8, v15, 0, 13
	v_and_or_b32 v10, v13, s10, v10
	v_or_b32_e32 v15, 0x1000, v6
	v_add_u32_e32 v12, 0xfffffc10, v12
	v_med3_i32 v13, v16, 0, 13
	v_cmp_ne_u32_e32 vcc, 0, v6
	v_or_b32_e32 v17, 0x1000, v10
	v_lshrrev_b32_e32 v19, v8, v15
	v_add_u32_e32 v14, 0xfffffc10, v14
	v_lshl_or_b32 v16, v12, 12, v6
	v_cndmask_b32_e64 v6, 0, 1, vcc
	v_cmp_ne_u32_e32 vcc, 0, v10
	v_lshrrev_b32_e32 v20, v13, v17
	v_lshlrev_b32_e32 v8, v8, v19
	v_lshl_or_b32 v18, v14, 12, v10
	v_cndmask_b32_e64 v10, 0, 1, vcc
	v_lshlrev_b32_e32 v13, v13, v20
	v_cmp_ne_u32_e32 vcc, v8, v15
	v_cndmask_b32_e64 v8, 0, 1, vcc
	v_cmp_ne_u32_e32 vcc, v13, v17
	v_cndmask_b32_e64 v13, 0, 1, vcc
	v_or_b32_e32 v8, v19, v8
	v_cmp_gt_i32_e32 vcc, 1, v12
	v_cndmask_b32_e32 v8, v16, v8, vcc
	v_or_b32_e32 v13, v20, v13
	v_cmp_gt_i32_e32 vcc, 1, v14
	v_and_b32_e32 v15, 7, v8
	v_cndmask_b32_e32 v13, v18, v13, vcc
	v_cmp_lt_i32_e32 vcc, 5, v15
	v_cmp_eq_u32_e64 s[0:1], 3, v15
	v_lshrrev_b32_e32 v8, 2, v8
	v_and_b32_e32 v16, 7, v13
	s_or_b64 vcc, s[0:1], vcc
	v_cmp_lt_i32_e64 s[2:3], 5, v16
	v_cmp_eq_u32_e64 s[4:5], 3, v16
	v_addc_co_u32_e32 v8, vcc, 0, v8, vcc
	v_lshrrev_b32_e32 v13, 2, v13
	s_or_b64 vcc, s[4:5], s[2:3]
	v_addc_co_u32_e32 v13, vcc, 0, v13, vcc
	v_cmp_gt_i32_e32 vcc, 31, v12
	v_cndmask_b32_e32 v8, v0, v8, vcc
	v_cmp_gt_i32_e32 vcc, 31, v14
	v_lshl_or_b32 v6, v6, 9, v0
	v_cndmask_b32_e32 v13, v0, v13, vcc
	v_cmp_eq_u32_e32 vcc, s18, v12
	v_lshrrev_b32_e32 v9, 16, v9
	v_lshl_or_b32 v10, v10, 9, v0
	v_cndmask_b32_e32 v6, v8, v6, vcc
	v_cmp_eq_u32_e32 vcc, s18, v14
	v_lshrrev_b32_e32 v11, 16, v11
	v_cndmask_b32_e32 v8, v13, v10, vcc
	v_and_or_b32 v6, v9, s17, v6
	v_and_or_b32 v8, v11, s17, v8
	v_and_b32_e32 v6, 0xffff, v6
	v_lshl_or_b32 v6, v8, 16, v6
	global_store_dword v[4:5], v6, off
	global_load_dword v6, v40, s[6:7] offset:960
	v_lshrrev_b32_e32 v8, 16, v7
	v_mov_b32_e32 v10, s12
	v_add_co_u32_e32 v4, vcc, s11, v4
	v_addc_co_u32_e32 v5, vcc, v5, v10, vcc
	s_waitcnt vmcnt(0)
	v_mul_f16_sdwa v9, v8, v6 dst_sel:DWORD dst_unused:UNUSED_PAD src0_sel:DWORD src1_sel:WORD_1
	v_fma_f16 v9, v7, v6, v9
	v_mul_f16_sdwa v7, v7, v6 dst_sel:DWORD dst_unused:UNUSED_PAD src0_sel:DWORD src1_sel:WORD_1
	v_cvt_f32_f16_e32 v9, v9
	v_fma_f16 v6, v6, v8, -v7
	v_cvt_f32_f16_e32 v8, v6
	v_cvt_f64_f32_e32 v[6:7], v9
	v_cvt_f64_f32_e32 v[8:9], v8
	v_mul_f64 v[6:7], v[6:7], s[14:15]
	v_mul_f64 v[8:9], v[8:9], s[14:15]
	v_and_or_b32 v6, v7, s16, v6
	v_cmp_ne_u32_e32 vcc, 0, v6
	v_and_or_b32 v8, v9, s16, v8
	v_lshrrev_b32_e32 v10, 8, v7
	v_bfe_u32 v11, v7, 20, 11
	v_cndmask_b32_e64 v6, 0, 1, vcc
	v_cmp_ne_u32_e32 vcc, 0, v8
	v_lshrrev_b32_e32 v12, 8, v9
	v_bfe_u32 v13, v9, 20, 11
	v_sub_u32_e32 v14, 0x3f1, v11
	v_cndmask_b32_e64 v8, 0, 1, vcc
	v_and_or_b32 v6, v10, s10, v6
	v_sub_u32_e32 v15, 0x3f1, v13
	v_med3_i32 v10, v14, 0, 13
	v_and_or_b32 v8, v12, s10, v8
	v_or_b32_e32 v14, 0x1000, v6
	v_add_u32_e32 v11, 0xfffffc10, v11
	v_med3_i32 v12, v15, 0, 13
	v_cmp_ne_u32_e32 vcc, 0, v6
	v_or_b32_e32 v16, 0x1000, v8
	v_lshrrev_b32_e32 v18, v10, v14
	v_add_u32_e32 v13, 0xfffffc10, v13
	v_lshl_or_b32 v15, v11, 12, v6
	v_cndmask_b32_e64 v6, 0, 1, vcc
	v_cmp_ne_u32_e32 vcc, 0, v8
	v_lshrrev_b32_e32 v19, v12, v16
	v_lshlrev_b32_e32 v10, v10, v18
	v_lshl_or_b32 v17, v13, 12, v8
	v_cndmask_b32_e64 v8, 0, 1, vcc
	v_lshlrev_b32_e32 v12, v12, v19
	v_cmp_ne_u32_e32 vcc, v10, v14
	v_cndmask_b32_e64 v10, 0, 1, vcc
	v_cmp_ne_u32_e32 vcc, v12, v16
	v_cndmask_b32_e64 v12, 0, 1, vcc
	v_or_b32_e32 v10, v18, v10
	v_cmp_gt_i32_e32 vcc, 1, v11
	v_cndmask_b32_e32 v10, v15, v10, vcc
	v_or_b32_e32 v12, v19, v12
	v_cmp_gt_i32_e32 vcc, 1, v13
	v_and_b32_e32 v14, 7, v10
	v_cndmask_b32_e32 v12, v17, v12, vcc
	v_cmp_lt_i32_e32 vcc, 5, v14
	v_cmp_eq_u32_e64 s[0:1], 3, v14
	v_lshrrev_b32_e32 v10, 2, v10
	v_and_b32_e32 v15, 7, v12
	s_or_b64 vcc, s[0:1], vcc
	v_cmp_lt_i32_e64 s[2:3], 5, v15
	v_cmp_eq_u32_e64 s[4:5], 3, v15
	v_addc_co_u32_e32 v10, vcc, 0, v10, vcc
	v_lshrrev_b32_e32 v12, 2, v12
	s_or_b64 vcc, s[4:5], s[2:3]
	v_addc_co_u32_e32 v12, vcc, 0, v12, vcc
	v_cmp_gt_i32_e32 vcc, 31, v11
	v_cndmask_b32_e32 v10, v0, v10, vcc
	v_cmp_gt_i32_e32 vcc, 31, v13
	v_lshl_or_b32 v6, v6, 9, v0
	v_cndmask_b32_e32 v12, v0, v12, vcc
	v_cmp_eq_u32_e32 vcc, s18, v11
	v_lshrrev_b32_e32 v7, 16, v7
	v_lshl_or_b32 v8, v8, 9, v0
	v_cndmask_b32_e32 v6, v10, v6, vcc
	v_cmp_eq_u32_e32 vcc, s18, v13
	v_lshrrev_b32_e32 v9, 16, v9
	v_cndmask_b32_e32 v8, v12, v8, vcc
	v_and_or_b32 v6, v7, s17, v6
	v_and_or_b32 v7, v9, s17, v8
	v_and_b32_e32 v6, 0xffff, v6
	v_lshl_or_b32 v6, v7, 16, v6
	global_store_dword v[4:5], v6, off
	global_load_dword v8, v40, s[6:7] offset:1080
	ds_read2_b32 v[6:7], v3 offset0:14 offset1:44
	v_add_co_u32_e32 v4, vcc, s11, v4
	s_waitcnt lgkmcnt(0)
	v_lshrrev_b32_e32 v9, 16, v6
	s_waitcnt vmcnt(0)
	v_mul_f16_sdwa v10, v9, v8 dst_sel:DWORD dst_unused:UNUSED_PAD src0_sel:DWORD src1_sel:WORD_1
	v_fma_f16 v10, v6, v8, v10
	v_mul_f16_sdwa v6, v6, v8 dst_sel:DWORD dst_unused:UNUSED_PAD src0_sel:DWORD src1_sel:WORD_1
	v_cvt_f32_f16_e32 v10, v10
	v_fma_f16 v6, v8, v9, -v6
	v_cvt_f32_f16_e32 v6, v6
	v_cvt_f64_f32_e32 v[8:9], v10
	v_cvt_f64_f32_e32 v[10:11], v6
	v_mov_b32_e32 v6, s12
	v_mul_f64 v[8:9], v[8:9], s[14:15]
	v_addc_co_u32_e32 v5, vcc, v5, v6, vcc
	v_mul_f64 v[10:11], v[10:11], s[14:15]
	v_and_or_b32 v6, v9, s16, v8
	v_cmp_ne_u32_e32 vcc, 0, v6
	v_lshrrev_b32_e32 v8, 8, v9
	v_and_or_b32 v10, v11, s16, v10
	v_bfe_u32 v12, v9, 20, 11
	v_cndmask_b32_e64 v6, 0, 1, vcc
	v_cmp_ne_u32_e32 vcc, 0, v10
	v_lshrrev_b32_e32 v13, 8, v11
	v_bfe_u32 v14, v11, 20, 11
	v_sub_u32_e32 v15, 0x3f1, v12
	v_cndmask_b32_e64 v10, 0, 1, vcc
	v_and_or_b32 v6, v8, s10, v6
	v_sub_u32_e32 v16, 0x3f1, v14
	v_med3_i32 v8, v15, 0, 13
	v_and_or_b32 v10, v13, s10, v10
	v_or_b32_e32 v15, 0x1000, v6
	v_add_u32_e32 v12, 0xfffffc10, v12
	v_med3_i32 v13, v16, 0, 13
	v_cmp_ne_u32_e32 vcc, 0, v6
	v_or_b32_e32 v17, 0x1000, v10
	v_lshrrev_b32_e32 v19, v8, v15
	v_add_u32_e32 v14, 0xfffffc10, v14
	v_lshl_or_b32 v16, v12, 12, v6
	v_cndmask_b32_e64 v6, 0, 1, vcc
	v_cmp_ne_u32_e32 vcc, 0, v10
	v_lshrrev_b32_e32 v20, v13, v17
	v_lshlrev_b32_e32 v8, v8, v19
	v_lshl_or_b32 v18, v14, 12, v10
	v_cndmask_b32_e64 v10, 0, 1, vcc
	v_lshlrev_b32_e32 v13, v13, v20
	v_cmp_ne_u32_e32 vcc, v8, v15
	v_cndmask_b32_e64 v8, 0, 1, vcc
	v_cmp_ne_u32_e32 vcc, v13, v17
	v_cndmask_b32_e64 v13, 0, 1, vcc
	v_or_b32_e32 v8, v19, v8
	v_cmp_gt_i32_e32 vcc, 1, v12
	v_cndmask_b32_e32 v8, v16, v8, vcc
	v_or_b32_e32 v13, v20, v13
	v_cmp_gt_i32_e32 vcc, 1, v14
	v_and_b32_e32 v15, 7, v8
	v_cndmask_b32_e32 v13, v18, v13, vcc
	v_cmp_lt_i32_e32 vcc, 5, v15
	v_cmp_eq_u32_e64 s[0:1], 3, v15
	v_lshrrev_b32_e32 v8, 2, v8
	v_and_b32_e32 v16, 7, v13
	s_or_b64 vcc, s[0:1], vcc
	v_cmp_lt_i32_e64 s[2:3], 5, v16
	v_cmp_eq_u32_e64 s[4:5], 3, v16
	v_addc_co_u32_e32 v8, vcc, 0, v8, vcc
	v_lshrrev_b32_e32 v13, 2, v13
	s_or_b64 vcc, s[4:5], s[2:3]
	v_addc_co_u32_e32 v13, vcc, 0, v13, vcc
	v_cmp_gt_i32_e32 vcc, 31, v12
	v_cndmask_b32_e32 v8, v0, v8, vcc
	v_cmp_gt_i32_e32 vcc, 31, v14
	v_lshl_or_b32 v6, v6, 9, v0
	v_cndmask_b32_e32 v13, v0, v13, vcc
	v_cmp_eq_u32_e32 vcc, s18, v12
	v_lshrrev_b32_e32 v9, 16, v9
	v_lshl_or_b32 v10, v10, 9, v0
	v_cndmask_b32_e32 v6, v8, v6, vcc
	v_cmp_eq_u32_e32 vcc, s18, v14
	v_lshrrev_b32_e32 v11, 16, v11
	v_cndmask_b32_e32 v8, v13, v10, vcc
	v_and_or_b32 v6, v9, s17, v6
	v_and_or_b32 v8, v11, s17, v8
	v_and_b32_e32 v6, 0xffff, v6
	v_lshl_or_b32 v6, v8, 16, v6
	global_store_dword v[4:5], v6, off
	global_load_dword v6, v40, s[6:7] offset:1200
	v_lshrrev_b32_e32 v8, 16, v7
	v_mov_b32_e32 v10, s12
	v_add_co_u32_e32 v4, vcc, s11, v4
	v_addc_co_u32_e32 v5, vcc, v5, v10, vcc
	s_waitcnt vmcnt(0)
	v_mul_f16_sdwa v9, v8, v6 dst_sel:DWORD dst_unused:UNUSED_PAD src0_sel:DWORD src1_sel:WORD_1
	v_fma_f16 v9, v7, v6, v9
	v_mul_f16_sdwa v7, v7, v6 dst_sel:DWORD dst_unused:UNUSED_PAD src0_sel:DWORD src1_sel:WORD_1
	v_cvt_f32_f16_e32 v9, v9
	v_fma_f16 v6, v6, v8, -v7
	v_cvt_f32_f16_e32 v8, v6
	v_cvt_f64_f32_e32 v[6:7], v9
	v_cvt_f64_f32_e32 v[8:9], v8
	v_mul_f64 v[6:7], v[6:7], s[14:15]
	v_mul_f64 v[8:9], v[8:9], s[14:15]
	v_and_or_b32 v6, v7, s16, v6
	v_cmp_ne_u32_e32 vcc, 0, v6
	v_and_or_b32 v8, v9, s16, v8
	v_lshrrev_b32_e32 v10, 8, v7
	v_bfe_u32 v11, v7, 20, 11
	v_cndmask_b32_e64 v6, 0, 1, vcc
	v_cmp_ne_u32_e32 vcc, 0, v8
	v_lshrrev_b32_e32 v12, 8, v9
	v_bfe_u32 v13, v9, 20, 11
	v_sub_u32_e32 v14, 0x3f1, v11
	v_cndmask_b32_e64 v8, 0, 1, vcc
	v_and_or_b32 v6, v10, s10, v6
	v_sub_u32_e32 v15, 0x3f1, v13
	v_med3_i32 v10, v14, 0, 13
	v_and_or_b32 v8, v12, s10, v8
	v_or_b32_e32 v14, 0x1000, v6
	v_add_u32_e32 v11, 0xfffffc10, v11
	v_med3_i32 v12, v15, 0, 13
	v_cmp_ne_u32_e32 vcc, 0, v6
	v_or_b32_e32 v16, 0x1000, v8
	v_lshrrev_b32_e32 v18, v10, v14
	v_add_u32_e32 v13, 0xfffffc10, v13
	v_lshl_or_b32 v15, v11, 12, v6
	v_cndmask_b32_e64 v6, 0, 1, vcc
	v_cmp_ne_u32_e32 vcc, 0, v8
	v_lshrrev_b32_e32 v19, v12, v16
	v_lshlrev_b32_e32 v10, v10, v18
	v_lshl_or_b32 v17, v13, 12, v8
	v_cndmask_b32_e64 v8, 0, 1, vcc
	v_lshlrev_b32_e32 v12, v12, v19
	v_cmp_ne_u32_e32 vcc, v10, v14
	v_cndmask_b32_e64 v10, 0, 1, vcc
	v_cmp_ne_u32_e32 vcc, v12, v16
	v_cndmask_b32_e64 v12, 0, 1, vcc
	v_or_b32_e32 v10, v18, v10
	v_cmp_gt_i32_e32 vcc, 1, v11
	v_cndmask_b32_e32 v10, v15, v10, vcc
	v_or_b32_e32 v12, v19, v12
	v_cmp_gt_i32_e32 vcc, 1, v13
	v_and_b32_e32 v14, 7, v10
	v_cndmask_b32_e32 v12, v17, v12, vcc
	v_cmp_lt_i32_e32 vcc, 5, v14
	v_cmp_eq_u32_e64 s[0:1], 3, v14
	v_lshrrev_b32_e32 v10, 2, v10
	v_and_b32_e32 v15, 7, v12
	s_or_b64 vcc, s[0:1], vcc
	v_cmp_lt_i32_e64 s[2:3], 5, v15
	v_cmp_eq_u32_e64 s[4:5], 3, v15
	v_addc_co_u32_e32 v10, vcc, 0, v10, vcc
	v_lshrrev_b32_e32 v12, 2, v12
	s_or_b64 vcc, s[4:5], s[2:3]
	v_addc_co_u32_e32 v12, vcc, 0, v12, vcc
	v_cmp_gt_i32_e32 vcc, 31, v11
	v_cndmask_b32_e32 v10, v0, v10, vcc
	v_cmp_gt_i32_e32 vcc, 31, v13
	v_lshl_or_b32 v6, v6, 9, v0
	v_cndmask_b32_e32 v12, v0, v12, vcc
	v_cmp_eq_u32_e32 vcc, s18, v11
	v_lshrrev_b32_e32 v7, 16, v7
	v_lshl_or_b32 v8, v8, 9, v0
	v_cndmask_b32_e32 v6, v10, v6, vcc
	v_cmp_eq_u32_e32 vcc, s18, v13
	v_lshrrev_b32_e32 v9, 16, v9
	v_cndmask_b32_e32 v8, v12, v8, vcc
	v_and_or_b32 v6, v7, s17, v6
	v_and_or_b32 v7, v9, s17, v8
	v_and_b32_e32 v6, 0xffff, v6
	v_lshl_or_b32 v6, v7, 16, v6
	global_store_dword v[4:5], v6, off
	global_load_dword v8, v40, s[6:7] offset:1320
	ds_read2_b32 v[6:7], v3 offset0:74 offset1:104
	v_add_co_u32_e32 v4, vcc, s11, v4
	s_waitcnt lgkmcnt(0)
	v_lshrrev_b32_e32 v9, 16, v6
	s_waitcnt vmcnt(0)
	v_mul_f16_sdwa v10, v9, v8 dst_sel:DWORD dst_unused:UNUSED_PAD src0_sel:DWORD src1_sel:WORD_1
	v_fma_f16 v10, v6, v8, v10
	v_mul_f16_sdwa v6, v6, v8 dst_sel:DWORD dst_unused:UNUSED_PAD src0_sel:DWORD src1_sel:WORD_1
	v_cvt_f32_f16_e32 v10, v10
	v_fma_f16 v6, v8, v9, -v6
	v_cvt_f32_f16_e32 v6, v6
	v_cvt_f64_f32_e32 v[8:9], v10
	v_cvt_f64_f32_e32 v[10:11], v6
	v_mov_b32_e32 v6, s12
	v_mul_f64 v[8:9], v[8:9], s[14:15]
	v_addc_co_u32_e32 v5, vcc, v5, v6, vcc
	v_mul_f64 v[10:11], v[10:11], s[14:15]
	v_and_or_b32 v6, v9, s16, v8
	v_cmp_ne_u32_e32 vcc, 0, v6
	v_lshrrev_b32_e32 v8, 8, v9
	v_and_or_b32 v10, v11, s16, v10
	v_bfe_u32 v12, v9, 20, 11
	v_cndmask_b32_e64 v6, 0, 1, vcc
	v_cmp_ne_u32_e32 vcc, 0, v10
	v_lshrrev_b32_e32 v13, 8, v11
	v_bfe_u32 v14, v11, 20, 11
	v_sub_u32_e32 v15, 0x3f1, v12
	v_cndmask_b32_e64 v10, 0, 1, vcc
	v_and_or_b32 v6, v8, s10, v6
	v_sub_u32_e32 v16, 0x3f1, v14
	v_med3_i32 v8, v15, 0, 13
	v_and_or_b32 v10, v13, s10, v10
	v_or_b32_e32 v15, 0x1000, v6
	v_add_u32_e32 v12, 0xfffffc10, v12
	v_med3_i32 v13, v16, 0, 13
	v_cmp_ne_u32_e32 vcc, 0, v6
	v_or_b32_e32 v17, 0x1000, v10
	v_lshrrev_b32_e32 v19, v8, v15
	v_add_u32_e32 v14, 0xfffffc10, v14
	v_lshl_or_b32 v16, v12, 12, v6
	v_cndmask_b32_e64 v6, 0, 1, vcc
	v_cmp_ne_u32_e32 vcc, 0, v10
	v_lshrrev_b32_e32 v20, v13, v17
	v_lshlrev_b32_e32 v8, v8, v19
	v_lshl_or_b32 v18, v14, 12, v10
	v_cndmask_b32_e64 v10, 0, 1, vcc
	v_lshlrev_b32_e32 v13, v13, v20
	v_cmp_ne_u32_e32 vcc, v8, v15
	v_cndmask_b32_e64 v8, 0, 1, vcc
	v_cmp_ne_u32_e32 vcc, v13, v17
	v_cndmask_b32_e64 v13, 0, 1, vcc
	v_or_b32_e32 v8, v19, v8
	v_cmp_gt_i32_e32 vcc, 1, v12
	v_cndmask_b32_e32 v8, v16, v8, vcc
	v_or_b32_e32 v13, v20, v13
	v_cmp_gt_i32_e32 vcc, 1, v14
	v_and_b32_e32 v15, 7, v8
	v_cndmask_b32_e32 v13, v18, v13, vcc
	v_cmp_lt_i32_e32 vcc, 5, v15
	v_cmp_eq_u32_e64 s[0:1], 3, v15
	v_lshrrev_b32_e32 v8, 2, v8
	v_and_b32_e32 v16, 7, v13
	s_or_b64 vcc, s[0:1], vcc
	v_cmp_lt_i32_e64 s[2:3], 5, v16
	v_cmp_eq_u32_e64 s[4:5], 3, v16
	v_addc_co_u32_e32 v8, vcc, 0, v8, vcc
	v_lshrrev_b32_e32 v13, 2, v13
	s_or_b64 vcc, s[4:5], s[2:3]
	v_addc_co_u32_e32 v13, vcc, 0, v13, vcc
	v_cmp_gt_i32_e32 vcc, 31, v12
	v_cndmask_b32_e32 v8, v0, v8, vcc
	v_cmp_gt_i32_e32 vcc, 31, v14
	v_lshl_or_b32 v6, v6, 9, v0
	v_cndmask_b32_e32 v13, v0, v13, vcc
	v_cmp_eq_u32_e32 vcc, s18, v12
	v_lshrrev_b32_e32 v9, 16, v9
	v_lshl_or_b32 v10, v10, 9, v0
	v_cndmask_b32_e32 v6, v8, v6, vcc
	v_cmp_eq_u32_e32 vcc, s18, v14
	v_lshrrev_b32_e32 v11, 16, v11
	v_cndmask_b32_e32 v8, v13, v10, vcc
	v_and_or_b32 v6, v9, s17, v6
	v_and_or_b32 v8, v11, s17, v8
	v_and_b32_e32 v6, 0xffff, v6
	v_lshl_or_b32 v6, v8, 16, v6
	global_store_dword v[4:5], v6, off
	global_load_dword v6, v40, s[6:7] offset:1440
	v_lshrrev_b32_e32 v8, 16, v7
	v_mov_b32_e32 v10, s12
	v_add_co_u32_e32 v4, vcc, s11, v4
	v_addc_co_u32_e32 v5, vcc, v5, v10, vcc
	s_waitcnt vmcnt(0)
	v_mul_f16_sdwa v9, v8, v6 dst_sel:DWORD dst_unused:UNUSED_PAD src0_sel:DWORD src1_sel:WORD_1
	v_fma_f16 v9, v7, v6, v9
	v_mul_f16_sdwa v7, v7, v6 dst_sel:DWORD dst_unused:UNUSED_PAD src0_sel:DWORD src1_sel:WORD_1
	v_cvt_f32_f16_e32 v9, v9
	v_fma_f16 v6, v6, v8, -v7
	v_cvt_f32_f16_e32 v8, v6
	v_cvt_f64_f32_e32 v[6:7], v9
	v_cvt_f64_f32_e32 v[8:9], v8
	v_mul_f64 v[6:7], v[6:7], s[14:15]
	v_mul_f64 v[8:9], v[8:9], s[14:15]
	v_and_or_b32 v6, v7, s16, v6
	v_cmp_ne_u32_e32 vcc, 0, v6
	v_and_or_b32 v8, v9, s16, v8
	v_lshrrev_b32_e32 v10, 8, v7
	v_bfe_u32 v11, v7, 20, 11
	v_cndmask_b32_e64 v6, 0, 1, vcc
	v_cmp_ne_u32_e32 vcc, 0, v8
	v_lshrrev_b32_e32 v12, 8, v9
	v_bfe_u32 v13, v9, 20, 11
	v_sub_u32_e32 v14, 0x3f1, v11
	v_cndmask_b32_e64 v8, 0, 1, vcc
	v_and_or_b32 v6, v10, s10, v6
	v_sub_u32_e32 v15, 0x3f1, v13
	v_med3_i32 v10, v14, 0, 13
	v_and_or_b32 v8, v12, s10, v8
	v_or_b32_e32 v14, 0x1000, v6
	v_add_u32_e32 v11, 0xfffffc10, v11
	v_med3_i32 v12, v15, 0, 13
	v_cmp_ne_u32_e32 vcc, 0, v6
	v_or_b32_e32 v16, 0x1000, v8
	v_lshrrev_b32_e32 v18, v10, v14
	v_add_u32_e32 v13, 0xfffffc10, v13
	v_lshl_or_b32 v15, v11, 12, v6
	v_cndmask_b32_e64 v6, 0, 1, vcc
	v_cmp_ne_u32_e32 vcc, 0, v8
	v_lshrrev_b32_e32 v19, v12, v16
	v_lshlrev_b32_e32 v10, v10, v18
	v_lshl_or_b32 v17, v13, 12, v8
	v_cndmask_b32_e64 v8, 0, 1, vcc
	v_lshlrev_b32_e32 v12, v12, v19
	v_cmp_ne_u32_e32 vcc, v10, v14
	v_cndmask_b32_e64 v10, 0, 1, vcc
	v_cmp_ne_u32_e32 vcc, v12, v16
	v_cndmask_b32_e64 v12, 0, 1, vcc
	v_or_b32_e32 v10, v18, v10
	v_cmp_gt_i32_e32 vcc, 1, v11
	v_cndmask_b32_e32 v10, v15, v10, vcc
	v_or_b32_e32 v12, v19, v12
	v_cmp_gt_i32_e32 vcc, 1, v13
	v_and_b32_e32 v14, 7, v10
	v_cndmask_b32_e32 v12, v17, v12, vcc
	v_cmp_lt_i32_e32 vcc, 5, v14
	v_cmp_eq_u32_e64 s[0:1], 3, v14
	v_lshrrev_b32_e32 v10, 2, v10
	v_and_b32_e32 v15, 7, v12
	s_or_b64 vcc, s[0:1], vcc
	v_cmp_lt_i32_e64 s[2:3], 5, v15
	v_cmp_eq_u32_e64 s[4:5], 3, v15
	v_addc_co_u32_e32 v10, vcc, 0, v10, vcc
	v_lshrrev_b32_e32 v12, 2, v12
	s_or_b64 vcc, s[4:5], s[2:3]
	v_addc_co_u32_e32 v12, vcc, 0, v12, vcc
	v_cmp_gt_i32_e32 vcc, 31, v11
	v_cndmask_b32_e32 v10, v0, v10, vcc
	v_cmp_gt_i32_e32 vcc, 31, v13
	v_lshl_or_b32 v6, v6, 9, v0
	v_cndmask_b32_e32 v12, v0, v12, vcc
	v_cmp_eq_u32_e32 vcc, s18, v11
	v_lshrrev_b32_e32 v7, 16, v7
	v_lshl_or_b32 v8, v8, 9, v0
	v_cndmask_b32_e32 v6, v10, v6, vcc
	v_cmp_eq_u32_e32 vcc, s18, v13
	v_lshrrev_b32_e32 v9, 16, v9
	v_cndmask_b32_e32 v8, v12, v8, vcc
	v_and_or_b32 v6, v7, s17, v6
	v_and_or_b32 v7, v9, s17, v8
	v_and_b32_e32 v6, 0xffff, v6
	v_lshl_or_b32 v6, v7, 16, v6
	global_store_dword v[4:5], v6, off
	global_load_dword v8, v40, s[6:7] offset:1560
	ds_read2_b32 v[6:7], v3 offset0:134 offset1:164
	v_add_co_u32_e32 v4, vcc, s11, v4
	s_waitcnt lgkmcnt(0)
	v_lshrrev_b32_e32 v9, 16, v6
	s_waitcnt vmcnt(0)
	v_mul_f16_sdwa v10, v9, v8 dst_sel:DWORD dst_unused:UNUSED_PAD src0_sel:DWORD src1_sel:WORD_1
	v_fma_f16 v10, v6, v8, v10
	v_mul_f16_sdwa v6, v6, v8 dst_sel:DWORD dst_unused:UNUSED_PAD src0_sel:DWORD src1_sel:WORD_1
	v_cvt_f32_f16_e32 v10, v10
	v_fma_f16 v6, v8, v9, -v6
	v_cvt_f32_f16_e32 v6, v6
	v_cvt_f64_f32_e32 v[8:9], v10
	v_cvt_f64_f32_e32 v[10:11], v6
	v_mov_b32_e32 v6, s12
	v_mul_f64 v[8:9], v[8:9], s[14:15]
	v_addc_co_u32_e32 v5, vcc, v5, v6, vcc
	v_mul_f64 v[10:11], v[10:11], s[14:15]
	v_and_or_b32 v6, v9, s16, v8
	v_cmp_ne_u32_e32 vcc, 0, v6
	v_lshrrev_b32_e32 v8, 8, v9
	v_and_or_b32 v10, v11, s16, v10
	v_bfe_u32 v12, v9, 20, 11
	v_cndmask_b32_e64 v6, 0, 1, vcc
	v_cmp_ne_u32_e32 vcc, 0, v10
	v_lshrrev_b32_e32 v13, 8, v11
	v_bfe_u32 v14, v11, 20, 11
	v_sub_u32_e32 v15, 0x3f1, v12
	v_cndmask_b32_e64 v10, 0, 1, vcc
	v_and_or_b32 v6, v8, s10, v6
	v_sub_u32_e32 v16, 0x3f1, v14
	v_med3_i32 v8, v15, 0, 13
	v_and_or_b32 v10, v13, s10, v10
	v_or_b32_e32 v15, 0x1000, v6
	v_add_u32_e32 v12, 0xfffffc10, v12
	v_med3_i32 v13, v16, 0, 13
	v_cmp_ne_u32_e32 vcc, 0, v6
	v_or_b32_e32 v17, 0x1000, v10
	v_lshrrev_b32_e32 v19, v8, v15
	v_add_u32_e32 v14, 0xfffffc10, v14
	v_lshl_or_b32 v16, v12, 12, v6
	v_cndmask_b32_e64 v6, 0, 1, vcc
	v_cmp_ne_u32_e32 vcc, 0, v10
	v_lshrrev_b32_e32 v20, v13, v17
	v_lshlrev_b32_e32 v8, v8, v19
	v_lshl_or_b32 v18, v14, 12, v10
	v_cndmask_b32_e64 v10, 0, 1, vcc
	v_lshlrev_b32_e32 v13, v13, v20
	v_cmp_ne_u32_e32 vcc, v8, v15
	v_cndmask_b32_e64 v8, 0, 1, vcc
	v_cmp_ne_u32_e32 vcc, v13, v17
	v_cndmask_b32_e64 v13, 0, 1, vcc
	v_or_b32_e32 v8, v19, v8
	v_cmp_gt_i32_e32 vcc, 1, v12
	v_cndmask_b32_e32 v8, v16, v8, vcc
	v_or_b32_e32 v13, v20, v13
	v_cmp_gt_i32_e32 vcc, 1, v14
	v_and_b32_e32 v15, 7, v8
	v_cndmask_b32_e32 v13, v18, v13, vcc
	v_cmp_lt_i32_e32 vcc, 5, v15
	v_cmp_eq_u32_e64 s[0:1], 3, v15
	v_lshrrev_b32_e32 v8, 2, v8
	v_and_b32_e32 v16, 7, v13
	s_or_b64 vcc, s[0:1], vcc
	v_cmp_lt_i32_e64 s[2:3], 5, v16
	v_cmp_eq_u32_e64 s[4:5], 3, v16
	v_addc_co_u32_e32 v8, vcc, 0, v8, vcc
	v_lshrrev_b32_e32 v13, 2, v13
	s_or_b64 vcc, s[4:5], s[2:3]
	v_addc_co_u32_e32 v13, vcc, 0, v13, vcc
	v_cmp_gt_i32_e32 vcc, 31, v12
	v_cndmask_b32_e32 v8, v0, v8, vcc
	v_cmp_gt_i32_e32 vcc, 31, v14
	v_lshl_or_b32 v6, v6, 9, v0
	v_cndmask_b32_e32 v13, v0, v13, vcc
	v_cmp_eq_u32_e32 vcc, s18, v12
	v_lshrrev_b32_e32 v9, 16, v9
	v_lshl_or_b32 v10, v10, 9, v0
	v_cndmask_b32_e32 v6, v8, v6, vcc
	v_cmp_eq_u32_e32 vcc, s18, v14
	v_lshrrev_b32_e32 v11, 16, v11
	v_cndmask_b32_e32 v8, v13, v10, vcc
	v_and_or_b32 v6, v9, s17, v6
	v_and_or_b32 v8, v11, s17, v8
	v_and_b32_e32 v6, 0xffff, v6
	v_lshl_or_b32 v6, v8, 16, v6
	global_store_dword v[4:5], v6, off
	global_load_dword v6, v40, s[6:7] offset:1680
	v_lshrrev_b32_e32 v8, 16, v7
	v_mov_b32_e32 v10, s12
	v_add_co_u32_e32 v4, vcc, s11, v4
	v_addc_co_u32_e32 v5, vcc, v5, v10, vcc
	s_waitcnt vmcnt(0)
	v_mul_f16_sdwa v9, v8, v6 dst_sel:DWORD dst_unused:UNUSED_PAD src0_sel:DWORD src1_sel:WORD_1
	v_fma_f16 v9, v7, v6, v9
	v_mul_f16_sdwa v7, v7, v6 dst_sel:DWORD dst_unused:UNUSED_PAD src0_sel:DWORD src1_sel:WORD_1
	v_cvt_f32_f16_e32 v9, v9
	v_fma_f16 v6, v6, v8, -v7
	v_cvt_f32_f16_e32 v8, v6
	v_cvt_f64_f32_e32 v[6:7], v9
	v_cvt_f64_f32_e32 v[8:9], v8
	v_mul_f64 v[6:7], v[6:7], s[14:15]
	v_mul_f64 v[8:9], v[8:9], s[14:15]
	v_and_or_b32 v6, v7, s16, v6
	v_cmp_ne_u32_e32 vcc, 0, v6
	v_and_or_b32 v8, v9, s16, v8
	v_lshrrev_b32_e32 v10, 8, v7
	v_bfe_u32 v11, v7, 20, 11
	v_cndmask_b32_e64 v6, 0, 1, vcc
	v_cmp_ne_u32_e32 vcc, 0, v8
	v_lshrrev_b32_e32 v12, 8, v9
	v_bfe_u32 v13, v9, 20, 11
	v_sub_u32_e32 v14, 0x3f1, v11
	v_cndmask_b32_e64 v8, 0, 1, vcc
	v_and_or_b32 v6, v10, s10, v6
	v_sub_u32_e32 v15, 0x3f1, v13
	v_med3_i32 v10, v14, 0, 13
	v_and_or_b32 v8, v12, s10, v8
	v_or_b32_e32 v14, 0x1000, v6
	v_add_u32_e32 v11, 0xfffffc10, v11
	v_med3_i32 v12, v15, 0, 13
	v_cmp_ne_u32_e32 vcc, 0, v6
	v_or_b32_e32 v16, 0x1000, v8
	v_lshrrev_b32_e32 v18, v10, v14
	v_add_u32_e32 v13, 0xfffffc10, v13
	v_lshl_or_b32 v15, v11, 12, v6
	v_cndmask_b32_e64 v6, 0, 1, vcc
	v_cmp_ne_u32_e32 vcc, 0, v8
	v_lshrrev_b32_e32 v19, v12, v16
	v_lshlrev_b32_e32 v10, v10, v18
	v_lshl_or_b32 v17, v13, 12, v8
	v_cndmask_b32_e64 v8, 0, 1, vcc
	v_lshlrev_b32_e32 v12, v12, v19
	v_cmp_ne_u32_e32 vcc, v10, v14
	v_cndmask_b32_e64 v10, 0, 1, vcc
	v_cmp_ne_u32_e32 vcc, v12, v16
	v_cndmask_b32_e64 v12, 0, 1, vcc
	v_or_b32_e32 v10, v18, v10
	v_cmp_gt_i32_e32 vcc, 1, v11
	v_cndmask_b32_e32 v10, v15, v10, vcc
	v_or_b32_e32 v12, v19, v12
	v_cmp_gt_i32_e32 vcc, 1, v13
	v_and_b32_e32 v14, 7, v10
	v_cndmask_b32_e32 v12, v17, v12, vcc
	v_cmp_lt_i32_e32 vcc, 5, v14
	v_cmp_eq_u32_e64 s[0:1], 3, v14
	v_lshrrev_b32_e32 v10, 2, v10
	v_and_b32_e32 v15, 7, v12
	s_or_b64 vcc, s[0:1], vcc
	v_cmp_lt_i32_e64 s[2:3], 5, v15
	v_cmp_eq_u32_e64 s[4:5], 3, v15
	v_addc_co_u32_e32 v10, vcc, 0, v10, vcc
	v_lshrrev_b32_e32 v12, 2, v12
	s_or_b64 vcc, s[4:5], s[2:3]
	v_addc_co_u32_e32 v12, vcc, 0, v12, vcc
	v_cmp_gt_i32_e32 vcc, 31, v11
	v_cndmask_b32_e32 v10, v0, v10, vcc
	v_cmp_gt_i32_e32 vcc, 31, v13
	v_lshl_or_b32 v6, v6, 9, v0
	v_cndmask_b32_e32 v12, v0, v12, vcc
	v_cmp_eq_u32_e32 vcc, s18, v11
	v_lshrrev_b32_e32 v7, 16, v7
	v_lshl_or_b32 v8, v8, 9, v0
	v_cndmask_b32_e32 v6, v10, v6, vcc
	v_cmp_eq_u32_e32 vcc, s18, v13
	v_lshrrev_b32_e32 v9, 16, v9
	v_cndmask_b32_e32 v8, v12, v8, vcc
	v_and_or_b32 v6, v7, s17, v6
	v_and_or_b32 v7, v9, s17, v8
	v_and_b32_e32 v6, 0xffff, v6
	v_lshl_or_b32 v6, v7, 16, v6
	global_store_dword v[4:5], v6, off
	global_load_dword v8, v40, s[6:7] offset:1800
	ds_read2_b32 v[6:7], v3 offset0:194 offset1:224
	s_waitcnt lgkmcnt(0)
	v_lshrrev_b32_e32 v3, 16, v6
	s_waitcnt vmcnt(0)
	v_mul_f16_sdwa v9, v3, v8 dst_sel:DWORD dst_unused:UNUSED_PAD src0_sel:DWORD src1_sel:WORD_1
	v_fma_f16 v9, v6, v8, v9
	v_mul_f16_sdwa v6, v6, v8 dst_sel:DWORD dst_unused:UNUSED_PAD src0_sel:DWORD src1_sel:WORD_1
	v_cvt_f32_f16_e32 v9, v9
	v_fma_f16 v3, v8, v3, -v6
	v_cvt_f32_f16_e32 v3, v3
	v_mov_b32_e32 v6, s12
	v_cvt_f64_f32_e32 v[8:9], v9
	v_cvt_f64_f32_e32 v[10:11], v3
	v_add_co_u32_e32 v3, vcc, s11, v4
	v_mul_f64 v[8:9], v[8:9], s[14:15]
	v_mul_f64 v[10:11], v[10:11], s[14:15]
	v_addc_co_u32_e32 v4, vcc, v5, v6, vcc
	v_and_or_b32 v5, v9, s16, v8
	v_and_or_b32 v10, v11, s16, v10
	v_cmp_ne_u32_e32 vcc, 0, v5
	v_lshrrev_b32_e32 v6, 8, v9
	v_bfe_u32 v8, v9, 20, 11
	v_cndmask_b32_e64 v5, 0, 1, vcc
	v_cmp_ne_u32_e32 vcc, 0, v10
	v_lshrrev_b32_e32 v12, 8, v11
	v_bfe_u32 v13, v11, 20, 11
	v_sub_u32_e32 v14, 0x3f1, v8
	v_cndmask_b32_e64 v10, 0, 1, vcc
	v_and_or_b32 v5, v6, s10, v5
	v_sub_u32_e32 v15, 0x3f1, v13
	v_med3_i32 v6, v14, 0, 13
	v_and_or_b32 v10, v12, s10, v10
	v_or_b32_e32 v14, 0x1000, v5
	v_add_u32_e32 v8, 0xfffffc10, v8
	v_med3_i32 v12, v15, 0, 13
	v_cmp_ne_u32_e32 vcc, 0, v5
	v_or_b32_e32 v16, 0x1000, v10
	v_lshrrev_b32_e32 v18, v6, v14
	v_add_u32_e32 v13, 0xfffffc10, v13
	v_lshl_or_b32 v15, v8, 12, v5
	v_cndmask_b32_e64 v5, 0, 1, vcc
	v_cmp_ne_u32_e32 vcc, 0, v10
	v_lshrrev_b32_e32 v19, v12, v16
	v_lshlrev_b32_e32 v6, v6, v18
	v_lshl_or_b32 v17, v13, 12, v10
	v_cndmask_b32_e64 v10, 0, 1, vcc
	v_lshlrev_b32_e32 v12, v12, v19
	v_cmp_ne_u32_e32 vcc, v6, v14
	v_cndmask_b32_e64 v6, 0, 1, vcc
	v_cmp_ne_u32_e32 vcc, v12, v16
	v_cndmask_b32_e64 v12, 0, 1, vcc
	v_or_b32_e32 v6, v18, v6
	v_cmp_gt_i32_e32 vcc, 1, v8
	v_cndmask_b32_e32 v6, v15, v6, vcc
	v_or_b32_e32 v12, v19, v12
	v_cmp_gt_i32_e32 vcc, 1, v13
	v_and_b32_e32 v14, 7, v6
	v_cndmask_b32_e32 v12, v17, v12, vcc
	v_cmp_lt_i32_e32 vcc, 5, v14
	v_cmp_eq_u32_e64 s[0:1], 3, v14
	v_lshrrev_b32_e32 v6, 2, v6
	v_and_b32_e32 v15, 7, v12
	s_or_b64 vcc, s[0:1], vcc
	v_cmp_lt_i32_e64 s[2:3], 5, v15
	v_cmp_eq_u32_e64 s[4:5], 3, v15
	v_addc_co_u32_e32 v6, vcc, 0, v6, vcc
	v_lshrrev_b32_e32 v12, 2, v12
	s_or_b64 vcc, s[4:5], s[2:3]
	v_addc_co_u32_e32 v12, vcc, 0, v12, vcc
	v_cmp_gt_i32_e32 vcc, 31, v8
	v_cndmask_b32_e32 v6, v0, v6, vcc
	v_cmp_gt_i32_e32 vcc, 31, v13
	v_lshl_or_b32 v5, v5, 9, v0
	v_cndmask_b32_e32 v12, v0, v12, vcc
	v_cmp_eq_u32_e32 vcc, s18, v8
	v_lshrrev_b32_e32 v9, 16, v9
	v_lshl_or_b32 v10, v10, 9, v0
	v_cndmask_b32_e32 v5, v6, v5, vcc
	v_cmp_eq_u32_e32 vcc, s18, v13
	v_lshrrev_b32_e32 v11, 16, v11
	v_cndmask_b32_e32 v6, v12, v10, vcc
	v_and_or_b32 v5, v9, s17, v5
	v_and_or_b32 v6, v11, s17, v6
	v_and_b32_e32 v5, 0xffff, v5
	v_lshl_or_b32 v5, v6, 16, v5
	global_store_dword v[3:4], v5, off
	global_load_dword v5, v40, s[6:7] offset:1920
	v_lshrrev_b32_e32 v6, 16, v7
	v_or_b32_e32 v9, 0x1e0, v39
	v_mad_u64_u32 v[3:4], s[0:1], s8, v9, 0
	s_waitcnt vmcnt(0)
	v_mul_f16_sdwa v8, v6, v5 dst_sel:DWORD dst_unused:UNUSED_PAD src0_sel:DWORD src1_sel:WORD_1
	v_fma_f16 v8, v7, v5, v8
	v_cvt_f32_f16_e32 v8, v8
	v_mul_f16_sdwa v7, v7, v5 dst_sel:DWORD dst_unused:UNUSED_PAD src0_sel:DWORD src1_sel:WORD_1
	v_fma_f16 v5, v5, v6, -v7
	v_cvt_f32_f16_e32 v7, v5
	v_cvt_f64_f32_e32 v[5:6], v8
	v_cvt_f64_f32_e32 v[7:8], v7
	v_mul_f64 v[5:6], v[5:6], s[14:15]
	v_mul_f64 v[7:8], v[7:8], s[14:15]
	v_mad_u64_u32 v[9:10], s[0:1], s9, v9, v[4:5]
	v_and_or_b32 v5, v6, s16, v5
	v_and_or_b32 v7, v8, s16, v7
	v_cmp_ne_u32_e32 vcc, 0, v5
	v_mov_b32_e32 v4, v9
	v_lshrrev_b32_e32 v9, 8, v6
	v_bfe_u32 v10, v6, 20, 11
	v_cndmask_b32_e64 v5, 0, 1, vcc
	v_cmp_ne_u32_e32 vcc, 0, v7
	v_lshrrev_b32_e32 v11, 8, v8
	v_bfe_u32 v12, v8, 20, 11
	v_sub_u32_e32 v13, 0x3f1, v10
	v_cndmask_b32_e64 v7, 0, 1, vcc
	v_and_or_b32 v5, v9, s10, v5
	v_sub_u32_e32 v14, 0x3f1, v12
	v_med3_i32 v9, v13, 0, 13
	v_and_or_b32 v7, v11, s10, v7
	v_or_b32_e32 v13, 0x1000, v5
	v_add_u32_e32 v10, 0xfffffc10, v10
	v_med3_i32 v11, v14, 0, 13
	v_cmp_ne_u32_e32 vcc, 0, v5
	v_or_b32_e32 v15, 0x1000, v7
	v_lshrrev_b32_e32 v17, v9, v13
	v_add_u32_e32 v12, 0xfffffc10, v12
	v_lshl_or_b32 v14, v10, 12, v5
	v_cndmask_b32_e64 v5, 0, 1, vcc
	v_cmp_ne_u32_e32 vcc, 0, v7
	v_lshrrev_b32_e32 v18, v11, v15
	v_lshlrev_b32_e32 v9, v9, v17
	v_lshl_or_b32 v16, v12, 12, v7
	v_cndmask_b32_e64 v7, 0, 1, vcc
	v_lshlrev_b32_e32 v11, v11, v18
	v_cmp_ne_u32_e32 vcc, v9, v13
	v_cndmask_b32_e64 v9, 0, 1, vcc
	v_cmp_ne_u32_e32 vcc, v11, v15
	v_cndmask_b32_e64 v11, 0, 1, vcc
	v_or_b32_e32 v9, v17, v9
	v_cmp_gt_i32_e32 vcc, 1, v10
	v_cndmask_b32_e32 v9, v14, v9, vcc
	v_or_b32_e32 v11, v18, v11
	v_cmp_gt_i32_e32 vcc, 1, v12
	v_and_b32_e32 v13, 7, v9
	v_cndmask_b32_e32 v11, v16, v11, vcc
	v_cmp_lt_i32_e32 vcc, 5, v13
	v_cmp_eq_u32_e64 s[0:1], 3, v13
	v_lshrrev_b32_e32 v9, 2, v9
	v_and_b32_e32 v14, 7, v11
	s_or_b64 vcc, s[0:1], vcc
	v_cmp_lt_i32_e64 s[2:3], 5, v14
	v_cmp_eq_u32_e64 s[4:5], 3, v14
	v_addc_co_u32_e32 v9, vcc, 0, v9, vcc
	v_lshrrev_b32_e32 v11, 2, v11
	s_or_b64 vcc, s[4:5], s[2:3]
	v_addc_co_u32_e32 v11, vcc, 0, v11, vcc
	v_cmp_gt_i32_e32 vcc, 31, v10
	v_cndmask_b32_e32 v9, v0, v9, vcc
	v_cmp_gt_i32_e32 vcc, 31, v12
	v_lshl_or_b32 v5, v5, 9, v0
	v_lshl_or_b32 v7, v7, 9, v0
	v_cndmask_b32_e32 v0, v0, v11, vcc
	v_cmp_eq_u32_e32 vcc, s18, v10
	v_lshrrev_b32_e32 v6, 16, v6
	v_cndmask_b32_e32 v5, v9, v5, vcc
	v_cmp_eq_u32_e32 vcc, s18, v12
	v_lshlrev_b64 v[3:4], 2, v[3:4]
	v_lshrrev_b32_e32 v8, 16, v8
	v_cndmask_b32_e32 v0, v0, v7, vcc
	v_and_or_b32 v5, v6, s17, v5
	v_and_or_b32 v0, v8, s17, v0
	v_and_b32_e32 v5, 0xffff, v5
	v_lshl_or_b32 v5, v0, 16, v5
	v_add_co_u32_e32 v0, vcc, v1, v3
	v_addc_co_u32_e32 v1, vcc, v2, v4, vcc
	global_store_dword v[0:1], v5, off
.LBB0_23:
	s_endpgm
	.section	.rodata,"a",@progbits
	.p2align	6, 0x0
	.amdhsa_kernel bluestein_single_fwd_len510_dim1_half_op_CI_CI
		.amdhsa_group_segment_fixed_size 14280
		.amdhsa_private_segment_fixed_size 20
		.amdhsa_kernarg_size 104
		.amdhsa_user_sgpr_count 6
		.amdhsa_user_sgpr_private_segment_buffer 1
		.amdhsa_user_sgpr_dispatch_ptr 0
		.amdhsa_user_sgpr_queue_ptr 0
		.amdhsa_user_sgpr_kernarg_segment_ptr 1
		.amdhsa_user_sgpr_dispatch_id 0
		.amdhsa_user_sgpr_flat_scratch_init 0
		.amdhsa_user_sgpr_private_segment_size 0
		.amdhsa_uses_dynamic_stack 0
		.amdhsa_system_sgpr_private_segment_wavefront_offset 1
		.amdhsa_system_sgpr_workgroup_id_x 1
		.amdhsa_system_sgpr_workgroup_id_y 0
		.amdhsa_system_sgpr_workgroup_id_z 0
		.amdhsa_system_sgpr_workgroup_info 0
		.amdhsa_system_vgpr_workitem_id 0
		.amdhsa_next_free_vgpr 256
		.amdhsa_next_free_sgpr 48
		.amdhsa_reserve_vcc 1
		.amdhsa_reserve_flat_scratch 0
		.amdhsa_float_round_mode_32 0
		.amdhsa_float_round_mode_16_64 0
		.amdhsa_float_denorm_mode_32 3
		.amdhsa_float_denorm_mode_16_64 3
		.amdhsa_dx10_clamp 1
		.amdhsa_ieee_mode 1
		.amdhsa_fp16_overflow 0
		.amdhsa_exception_fp_ieee_invalid_op 0
		.amdhsa_exception_fp_denorm_src 0
		.amdhsa_exception_fp_ieee_div_zero 0
		.amdhsa_exception_fp_ieee_overflow 0
		.amdhsa_exception_fp_ieee_underflow 0
		.amdhsa_exception_fp_ieee_inexact 0
		.amdhsa_exception_int_div_zero 0
	.end_amdhsa_kernel
	.text
.Lfunc_end0:
	.size	bluestein_single_fwd_len510_dim1_half_op_CI_CI, .Lfunc_end0-bluestein_single_fwd_len510_dim1_half_op_CI_CI
                                        ; -- End function
	.section	.AMDGPU.csdata,"",@progbits
; Kernel info:
; codeLenInByte = 30020
; NumSgprs: 52
; NumVgprs: 256
; ScratchSize: 20
; MemoryBound: 0
; FloatMode: 240
; IeeeMode: 1
; LDSByteSize: 14280 bytes/workgroup (compile time only)
; SGPRBlocks: 6
; VGPRBlocks: 63
; NumSGPRsForWavesPerEU: 52
; NumVGPRsForWavesPerEU: 256
; Occupancy: 1
; WaveLimiterHint : 1
; COMPUTE_PGM_RSRC2:SCRATCH_EN: 1
; COMPUTE_PGM_RSRC2:USER_SGPR: 6
; COMPUTE_PGM_RSRC2:TRAP_HANDLER: 0
; COMPUTE_PGM_RSRC2:TGID_X_EN: 1
; COMPUTE_PGM_RSRC2:TGID_Y_EN: 0
; COMPUTE_PGM_RSRC2:TGID_Z_EN: 0
; COMPUTE_PGM_RSRC2:TIDIG_COMP_CNT: 0
	.type	__hip_cuid_104742a2b7f4fa66,@object ; @__hip_cuid_104742a2b7f4fa66
	.section	.bss,"aw",@nobits
	.globl	__hip_cuid_104742a2b7f4fa66
__hip_cuid_104742a2b7f4fa66:
	.byte	0                               ; 0x0
	.size	__hip_cuid_104742a2b7f4fa66, 1

	.ident	"AMD clang version 19.0.0git (https://github.com/RadeonOpenCompute/llvm-project roc-6.4.0 25133 c7fe45cf4b819c5991fe208aaa96edf142730f1d)"
	.section	".note.GNU-stack","",@progbits
	.addrsig
	.addrsig_sym __hip_cuid_104742a2b7f4fa66
	.amdgpu_metadata
---
amdhsa.kernels:
  - .args:
      - .actual_access:  read_only
        .address_space:  global
        .offset:         0
        .size:           8
        .value_kind:     global_buffer
      - .actual_access:  read_only
        .address_space:  global
        .offset:         8
        .size:           8
        .value_kind:     global_buffer
      - .actual_access:  read_only
        .address_space:  global
        .offset:         16
        .size:           8
        .value_kind:     global_buffer
      - .actual_access:  read_only
        .address_space:  global
        .offset:         24
        .size:           8
        .value_kind:     global_buffer
      - .actual_access:  read_only
        .address_space:  global
        .offset:         32
        .size:           8
        .value_kind:     global_buffer
      - .offset:         40
        .size:           8
        .value_kind:     by_value
      - .address_space:  global
        .offset:         48
        .size:           8
        .value_kind:     global_buffer
      - .address_space:  global
        .offset:         56
        .size:           8
        .value_kind:     global_buffer
      - .address_space:  global
        .offset:         64
        .size:           8
        .value_kind:     global_buffer
      - .address_space:  global
        .offset:         72
        .size:           8
        .value_kind:     global_buffer
      - .offset:         80
        .size:           4
        .value_kind:     by_value
      - .address_space:  global
        .offset:         88
        .size:           8
        .value_kind:     global_buffer
      - .address_space:  global
        .offset:         96
        .size:           8
        .value_kind:     global_buffer
    .group_segment_fixed_size: 14280
    .kernarg_segment_align: 8
    .kernarg_segment_size: 104
    .language:       OpenCL C
    .language_version:
      - 2
      - 0
    .max_flat_workgroup_size: 238
    .name:           bluestein_single_fwd_len510_dim1_half_op_CI_CI
    .private_segment_fixed_size: 20
    .sgpr_count:     52
    .sgpr_spill_count: 0
    .symbol:         bluestein_single_fwd_len510_dim1_half_op_CI_CI.kd
    .uniform_work_group_size: 1
    .uses_dynamic_stack: false
    .vgpr_count:     256
    .vgpr_spill_count: 4
    .wavefront_size: 64
amdhsa.target:   amdgcn-amd-amdhsa--gfx906
amdhsa.version:
  - 1
  - 2
...

	.end_amdgpu_metadata
